;; amdgpu-corpus repo=pytorch/pytorch kind=compiled arch=gfx1100 opt=O3
	.text
	.amdgcn_target "amdgcn-amd-amdhsa--gfx1100"
	.amdhsa_code_object_version 6
	.section	.text._ZN2at6native12_GLOBAL__N_140max_pool3d_with_indices_single_out_frameIdEEvPKT_PS3_Pliiiiiiiiiiiiiiiiiiiiib,"axG",@progbits,_ZN2at6native12_GLOBAL__N_140max_pool3d_with_indices_single_out_frameIdEEvPKT_PS3_Pliiiiiiiiiiiiiiiiiiiiib,comdat
	.globl	_ZN2at6native12_GLOBAL__N_140max_pool3d_with_indices_single_out_frameIdEEvPKT_PS3_Pliiiiiiiiiiiiiiiiiiiiib ; -- Begin function _ZN2at6native12_GLOBAL__N_140max_pool3d_with_indices_single_out_frameIdEEvPKT_PS3_Pliiiiiiiiiiiiiiiiiiiiib
	.p2align	8
	.type	_ZN2at6native12_GLOBAL__N_140max_pool3d_with_indices_single_out_frameIdEEvPKT_PS3_Pliiiiiiiiiiiiiiiiiiiiib,@function
_ZN2at6native12_GLOBAL__N_140max_pool3d_with_indices_single_out_frameIdEEvPKT_PS3_Pliiiiiiiiiiiiiiiiiiiiib: ; @_ZN2at6native12_GLOBAL__N_140max_pool3d_with_indices_single_out_frameIdEEvPKT_PS3_Pliiiiiiiiiiiiiiiiiiiiib
; %bb.0:
	s_clause 0x3
	s_load_b64 s[2:3], s[0:1], 0x68
	s_load_b64 s[8:9], s[0:1], 0x7c
	s_load_b512 s[16:31], s[0:1], 0x18
	s_load_b128 s[4:7], s[0:1], 0x58
	v_bfe_u32 v1, v0, 20, 10
	s_waitcnt lgkmcnt(0)
	s_bitcmp1_b32 s3, 0
	s_cselect_b32 s33, -1, 0
	s_and_b32 s3, s9, 0xffff
	s_mov_b32 s12, s21
	s_mul_i32 s15, s15, s3
	s_and_b32 vcc_lo, exec_lo, s33
	v_add3_u32 v7, s15, s2, v1
	s_mov_b32 s2, -1
	s_cbranch_vccnz .LBB0_2
; %bb.1:
	v_cvt_f32_u32_e32 v1, s21
	s_sub_i32 s2, 0, s21
	v_mov_b32_e32 v5, 0
	s_delay_alu instid0(VALU_DEP_2) | instskip(SKIP_2) | instid1(VALU_DEP_1)
	v_rcp_iflag_f32_e32 v1, v1
	s_waitcnt_depctr 0xfff
	v_mul_f32_e32 v1, 0x4f7ffffe, v1
	v_cvt_u32_f32_e32 v1, v1
	s_delay_alu instid0(VALU_DEP_1) | instskip(SKIP_1) | instid1(VALU_DEP_1)
	v_mul_lo_u32 v2, s2, v1
	s_mov_b32 s2, 0
	v_mul_hi_u32 v2, v1, v2
	s_delay_alu instid0(VALU_DEP_1) | instskip(NEXT) | instid1(VALU_DEP_1)
	v_add_nc_u32_e32 v1, v1, v2
	v_mul_hi_u32 v1, v7, v1
	s_delay_alu instid0(VALU_DEP_1) | instskip(SKIP_1) | instid1(VALU_DEP_2)
	v_mul_lo_u32 v2, v1, s21
	v_add_nc_u32_e32 v3, 1, v1
	v_sub_nc_u32_e32 v2, v7, v2
	s_delay_alu instid0(VALU_DEP_1) | instskip(SKIP_1) | instid1(VALU_DEP_2)
	v_subrev_nc_u32_e32 v4, s21, v2
	v_cmp_le_u32_e32 vcc_lo, s21, v2
	v_dual_cndmask_b32 v1, v1, v3 :: v_dual_cndmask_b32 v2, v2, v4
	s_delay_alu instid0(VALU_DEP_1) | instskip(NEXT) | instid1(VALU_DEP_2)
	v_add_nc_u32_e32 v3, 1, v1
	v_cmp_le_u32_e32 vcc_lo, s21, v2
	s_delay_alu instid0(VALU_DEP_2) | instskip(NEXT) | instid1(VALU_DEP_1)
	v_cndmask_b32_e32 v1, v1, v3, vcc_lo
	v_mul_lo_u32 v2, v1, s21
	s_delay_alu instid0(VALU_DEP_1)
	v_sub_nc_u32_e32 v4, v7, v2
	v_mov_b32_e32 v2, v5
	s_branch .LBB0_3
.LBB0_2:
                                        ; implicit-def: $vgpr4_vgpr5
                                        ; implicit-def: $vgpr1_vgpr2
.LBB0_3:
	v_cndmask_b32_e64 v6, 0, 1, s2
	v_mov_b32_e32 v3, s2
	s_delay_alu instid0(VALU_DEP_2)
	v_cmp_ne_u32_e32 vcc_lo, 1, v6
	v_mov_b32_e32 v6, s2
	s_cbranch_vccnz .LBB0_8
; %bb.4:
	v_cvt_f32_u32_e32 v1, s16
	s_sub_i32 s2, 0, s16
	s_ashr_i32 s3, s21, 31
	s_mov_b32 s10, 0
	s_mov_b32 s11, s3
	v_rcp_iflag_f32_e32 v1, v1
	s_cmp_lg_u64 s[10:11], 0
	s_waitcnt_depctr 0xfff
	v_mul_f32_e32 v1, 0x4f7ffffe, v1
	s_delay_alu instid0(VALU_DEP_1) | instskip(NEXT) | instid1(VALU_DEP_1)
	v_cvt_u32_f32_e32 v1, v1
	v_mul_lo_u32 v2, s2, v1
	s_delay_alu instid0(VALU_DEP_1) | instskip(NEXT) | instid1(VALU_DEP_1)
	v_mul_hi_u32 v2, v1, v2
	v_add_nc_u32_e32 v1, v1, v2
	s_delay_alu instid0(VALU_DEP_1) | instskip(NEXT) | instid1(VALU_DEP_1)
	v_mul_hi_u32 v1, v7, v1
	v_mul_lo_u32 v2, v1, s16
	v_add_nc_u32_e32 v3, 1, v1
	s_delay_alu instid0(VALU_DEP_2) | instskip(NEXT) | instid1(VALU_DEP_1)
	v_sub_nc_u32_e32 v2, v7, v2
	v_subrev_nc_u32_e32 v4, s16, v2
	v_cmp_le_u32_e32 vcc_lo, s16, v2
	s_delay_alu instid0(VALU_DEP_4) | instskip(NEXT) | instid1(VALU_DEP_3)
	v_cndmask_b32_e32 v1, v1, v3, vcc_lo
	v_dual_cndmask_b32 v3, v2, v4 :: v_dual_mov_b32 v2, 0
	s_delay_alu instid0(VALU_DEP_2) | instskip(NEXT) | instid1(VALU_DEP_2)
	v_add_nc_u32_e32 v4, 1, v1
	v_cmp_le_u32_e32 vcc_lo, s16, v3
	s_delay_alu instid0(VALU_DEP_2)
	v_cndmask_b32_e32 v1, v1, v4, vcc_lo
	s_cbranch_scc0 .LBB0_13
; %bb.5:
	s_add_u32 s36, s12, s3
	s_mov_b32 s34, s3
	s_mov_b32 s35, s3
	s_addc_u32 s37, s3, s3
	s_delay_alu instid0(SALU_CYCLE_1) | instskip(NEXT) | instid1(SALU_CYCLE_1)
	s_xor_b64 s[36:37], s[36:37], s[34:35]
	v_cvt_f32_u32_e32 v3, s36
	v_cvt_f32_u32_e32 v4, s37
	s_sub_u32 s2, 0, s36
	s_subb_u32 s9, 0, s37
	s_delay_alu instid0(VALU_DEP_1) | instskip(NEXT) | instid1(VALU_DEP_1)
	v_fmamk_f32 v3, v4, 0x4f800000, v3
	v_rcp_f32_e32 v3, v3
	s_waitcnt_depctr 0xfff
	v_mul_f32_e32 v3, 0x5f7ffffc, v3
	s_delay_alu instid0(VALU_DEP_1) | instskip(NEXT) | instid1(VALU_DEP_1)
	v_mul_f32_e32 v4, 0x2f800000, v3
	v_trunc_f32_e32 v4, v4
	s_delay_alu instid0(VALU_DEP_1) | instskip(SKIP_1) | instid1(VALU_DEP_2)
	v_fmamk_f32 v3, v4, 0xcf800000, v3
	v_cvt_u32_f32_e32 v4, v4
	v_cvt_u32_f32_e32 v3, v3
	s_delay_alu instid0(VALU_DEP_2) | instskip(NEXT) | instid1(VALU_DEP_2)
	v_mul_lo_u32 v5, s2, v4
	v_mul_hi_u32 v6, s2, v3
	v_mul_lo_u32 v8, s9, v3
	s_delay_alu instid0(VALU_DEP_2) | instskip(SKIP_1) | instid1(VALU_DEP_2)
	v_add_nc_u32_e32 v5, v6, v5
	v_mul_lo_u32 v6, s2, v3
	v_add_nc_u32_e32 v5, v5, v8
	s_delay_alu instid0(VALU_DEP_2) | instskip(NEXT) | instid1(VALU_DEP_2)
	v_mul_hi_u32 v8, v3, v6
	v_mul_lo_u32 v9, v3, v5
	v_mul_hi_u32 v10, v3, v5
	v_mul_hi_u32 v11, v4, v6
	v_mul_lo_u32 v6, v4, v6
	v_mul_hi_u32 v12, v4, v5
	v_mul_lo_u32 v5, v4, v5
	v_add_co_u32 v8, vcc_lo, v8, v9
	v_add_co_ci_u32_e32 v9, vcc_lo, 0, v10, vcc_lo
	s_delay_alu instid0(VALU_DEP_2) | instskip(NEXT) | instid1(VALU_DEP_2)
	v_add_co_u32 v6, vcc_lo, v8, v6
	v_add_co_ci_u32_e32 v6, vcc_lo, v9, v11, vcc_lo
	v_add_co_ci_u32_e32 v8, vcc_lo, 0, v12, vcc_lo
	s_delay_alu instid0(VALU_DEP_2) | instskip(NEXT) | instid1(VALU_DEP_2)
	v_add_co_u32 v5, vcc_lo, v6, v5
	v_add_co_ci_u32_e32 v6, vcc_lo, 0, v8, vcc_lo
	s_delay_alu instid0(VALU_DEP_2) | instskip(NEXT) | instid1(VALU_DEP_2)
	v_add_co_u32 v3, vcc_lo, v3, v5
	v_add_co_ci_u32_e32 v4, vcc_lo, v4, v6, vcc_lo
	s_delay_alu instid0(VALU_DEP_2) | instskip(SKIP_1) | instid1(VALU_DEP_3)
	v_mul_hi_u32 v5, s2, v3
	v_mul_lo_u32 v8, s9, v3
	v_mul_lo_u32 v6, s2, v4
	s_delay_alu instid0(VALU_DEP_1) | instskip(SKIP_1) | instid1(VALU_DEP_2)
	v_add_nc_u32_e32 v5, v5, v6
	v_mul_lo_u32 v6, s2, v3
	v_add_nc_u32_e32 v5, v5, v8
	s_delay_alu instid0(VALU_DEP_2) | instskip(NEXT) | instid1(VALU_DEP_2)
	v_mul_hi_u32 v8, v3, v6
	v_mul_lo_u32 v9, v3, v5
	v_mul_hi_u32 v10, v3, v5
	v_mul_hi_u32 v11, v4, v6
	v_mul_lo_u32 v6, v4, v6
	v_mul_hi_u32 v12, v4, v5
	v_mul_lo_u32 v5, v4, v5
	v_add_co_u32 v8, vcc_lo, v8, v9
	v_add_co_ci_u32_e32 v9, vcc_lo, 0, v10, vcc_lo
	s_delay_alu instid0(VALU_DEP_2) | instskip(NEXT) | instid1(VALU_DEP_2)
	v_add_co_u32 v6, vcc_lo, v8, v6
	v_add_co_ci_u32_e32 v6, vcc_lo, v9, v11, vcc_lo
	v_add_co_ci_u32_e32 v8, vcc_lo, 0, v12, vcc_lo
	s_delay_alu instid0(VALU_DEP_2) | instskip(NEXT) | instid1(VALU_DEP_2)
	v_add_co_u32 v5, vcc_lo, v6, v5
	v_add_co_ci_u32_e32 v6, vcc_lo, 0, v8, vcc_lo
	s_delay_alu instid0(VALU_DEP_2) | instskip(NEXT) | instid1(VALU_DEP_2)
	v_add_co_u32 v8, vcc_lo, v3, v5
	v_add_co_ci_u32_e32 v10, vcc_lo, v4, v6, vcc_lo
	s_delay_alu instid0(VALU_DEP_2) | instskip(SKIP_1) | instid1(VALU_DEP_3)
	v_mul_hi_u32 v11, v1, v8
	v_mad_u64_u32 v[5:6], null, 0, v8, 0
	v_mad_u64_u32 v[3:4], null, v1, v10, 0
	;; [unrolled: 1-line block ×3, first 2 shown]
	s_delay_alu instid0(VALU_DEP_2) | instskip(NEXT) | instid1(VALU_DEP_3)
	v_add_co_u32 v3, vcc_lo, v11, v3
	v_add_co_ci_u32_e32 v4, vcc_lo, 0, v4, vcc_lo
	s_delay_alu instid0(VALU_DEP_2) | instskip(NEXT) | instid1(VALU_DEP_2)
	v_add_co_u32 v3, vcc_lo, v3, v5
	v_add_co_ci_u32_e32 v3, vcc_lo, v4, v6, vcc_lo
	v_add_co_ci_u32_e32 v4, vcc_lo, 0, v9, vcc_lo
	s_delay_alu instid0(VALU_DEP_2) | instskip(NEXT) | instid1(VALU_DEP_2)
	v_add_co_u32 v5, vcc_lo, v3, v8
	v_add_co_ci_u32_e32 v6, vcc_lo, 0, v4, vcc_lo
	s_delay_alu instid0(VALU_DEP_2) | instskip(SKIP_1) | instid1(VALU_DEP_3)
	v_mul_lo_u32 v8, s37, v5
	v_mad_u64_u32 v[3:4], null, s36, v5, 0
	v_mul_lo_u32 v9, s36, v6
	s_delay_alu instid0(VALU_DEP_2) | instskip(NEXT) | instid1(VALU_DEP_2)
	v_sub_co_u32 v3, vcc_lo, v1, v3
	v_add3_u32 v4, v4, v9, v8
	s_delay_alu instid0(VALU_DEP_1) | instskip(NEXT) | instid1(VALU_DEP_1)
	v_sub_nc_u32_e32 v8, 0, v4
	v_subrev_co_ci_u32_e64 v8, s2, s37, v8, vcc_lo
	v_add_co_u32 v9, s2, v5, 2
	s_delay_alu instid0(VALU_DEP_1) | instskip(SKIP_3) | instid1(VALU_DEP_3)
	v_add_co_ci_u32_e64 v10, s2, 0, v6, s2
	v_sub_co_u32 v11, s2, v3, s36
	v_sub_co_ci_u32_e32 v4, vcc_lo, 0, v4, vcc_lo
	v_subrev_co_ci_u32_e64 v8, s2, 0, v8, s2
	v_cmp_le_u32_e32 vcc_lo, s36, v11
	s_delay_alu instid0(VALU_DEP_3) | instskip(SKIP_1) | instid1(VALU_DEP_4)
	v_cmp_eq_u32_e64 s2, s37, v4
	v_cndmask_b32_e64 v11, 0, -1, vcc_lo
	v_cmp_le_u32_e32 vcc_lo, s37, v8
	v_cndmask_b32_e64 v12, 0, -1, vcc_lo
	v_cmp_le_u32_e32 vcc_lo, s36, v3
	;; [unrolled: 2-line block ×3, first 2 shown]
	v_cndmask_b32_e64 v13, 0, -1, vcc_lo
	v_cmp_eq_u32_e32 vcc_lo, s37, v8
	s_delay_alu instid0(VALU_DEP_2) | instskip(SKIP_3) | instid1(VALU_DEP_3)
	v_cndmask_b32_e64 v3, v13, v3, s2
	v_cndmask_b32_e32 v8, v12, v11, vcc_lo
	v_add_co_u32 v11, vcc_lo, v5, 1
	v_add_co_ci_u32_e32 v12, vcc_lo, 0, v6, vcc_lo
	v_cmp_ne_u32_e32 vcc_lo, 0, v8
	s_delay_alu instid0(VALU_DEP_2) | instskip(NEXT) | instid1(VALU_DEP_4)
	v_cndmask_b32_e32 v4, v12, v10, vcc_lo
	v_cndmask_b32_e32 v8, v11, v9, vcc_lo
	v_cmp_ne_u32_e32 vcc_lo, 0, v3
	s_delay_alu instid0(VALU_DEP_3) | instskip(NEXT) | instid1(VALU_DEP_3)
	v_cndmask_b32_e32 v3, v6, v4, vcc_lo
	v_cndmask_b32_e32 v4, v5, v8, vcc_lo
	s_delay_alu instid0(VALU_DEP_2) | instskip(NEXT) | instid1(VALU_DEP_2)
	v_xor_b32_e32 v5, s35, v3
	v_xor_b32_e32 v4, s34, v4
	s_delay_alu instid0(VALU_DEP_1) | instskip(NEXT) | instid1(VALU_DEP_3)
	v_sub_co_u32 v3, vcc_lo, v4, s34
	v_subrev_co_ci_u32_e32 v4, vcc_lo, s35, v5, vcc_lo
	s_and_not1_b32 vcc_lo, exec_lo, s10
	s_cbranch_vccnz .LBB0_7
.LBB0_6:
	v_cvt_f32_u32_e32 v3, s12
	s_sub_i32 s2, 0, s12
	s_delay_alu instid0(VALU_DEP_1) | instskip(SKIP_2) | instid1(VALU_DEP_1)
	v_rcp_iflag_f32_e32 v3, v3
	s_waitcnt_depctr 0xfff
	v_mul_f32_e32 v3, 0x4f7ffffe, v3
	v_cvt_u32_f32_e32 v3, v3
	s_delay_alu instid0(VALU_DEP_1) | instskip(NEXT) | instid1(VALU_DEP_1)
	v_mul_lo_u32 v4, s2, v3
	v_mul_hi_u32 v4, v3, v4
	s_delay_alu instid0(VALU_DEP_1) | instskip(NEXT) | instid1(VALU_DEP_1)
	v_add_nc_u32_e32 v3, v3, v4
	v_mul_hi_u32 v3, v1, v3
	s_delay_alu instid0(VALU_DEP_1) | instskip(SKIP_1) | instid1(VALU_DEP_2)
	v_mul_lo_u32 v4, v3, s12
	v_add_nc_u32_e32 v5, 1, v3
	v_sub_nc_u32_e32 v4, v1, v4
	s_delay_alu instid0(VALU_DEP_1) | instskip(SKIP_1) | instid1(VALU_DEP_2)
	v_subrev_nc_u32_e32 v6, s12, v4
	v_cmp_le_u32_e32 vcc_lo, s12, v4
	v_dual_cndmask_b32 v4, v4, v6 :: v_dual_cndmask_b32 v3, v3, v5
	s_delay_alu instid0(VALU_DEP_1) | instskip(NEXT) | instid1(VALU_DEP_2)
	v_cmp_le_u32_e32 vcc_lo, s12, v4
	v_dual_mov_b32 v4, 0 :: v_dual_add_nc_u32 v5, 1, v3
	s_delay_alu instid0(VALU_DEP_1)
	v_cndmask_b32_e32 v3, v3, v5, vcc_lo
.LBB0_7:
	s_delay_alu instid0(VALU_DEP_1) | instskip(NEXT) | instid1(VALU_DEP_2)
	v_mul_lo_u32 v6, v4, s12
	v_mul_lo_u32 v8, v3, s3
	v_mad_u64_u32 v[4:5], null, v3, s12, 0
	v_mul_lo_u32 v9, v1, s16
	s_delay_alu instid0(VALU_DEP_2) | instskip(NEXT) | instid1(VALU_DEP_3)
	v_add3_u32 v5, v5, v8, v6
	v_sub_co_u32 v4, vcc_lo, v1, v4
	s_delay_alu instid0(VALU_DEP_3) | instskip(NEXT) | instid1(VALU_DEP_3)
	v_sub_nc_u32_e32 v6, v7, v9
	v_sub_co_ci_u32_e32 v5, vcc_lo, 0, v5, vcc_lo
.LBB0_8:
	v_bfe_u32 v7, v0, 10, 10
	s_lshr_b32 s2, s8, 16
	s_xor_b32 s36, s33, -1
	s_ashr_i32 s15, s22, 31
	s_delay_alu instid0(VALU_DEP_1) | instskip(SKIP_3) | instid1(VALU_DEP_1)
	v_mad_u64_u32 v[8:9], null, s14, s2, v[7:8]
	v_mov_b32_e32 v9, 0
	s_mov_b32 s14, s22
	s_mov_b32 s2, exec_lo
	v_cmpx_gt_i64_e64 s[14:15], v[8:9]
	s_cbranch_execz .LBB0_33
; %bb.9:
	v_and_b32_e32 v0, 0x3ff, v0
	s_and_b32 s2, s8, 0xffff
	s_ashr_i32 s35, s23, 31
	s_mov_b32 s34, s23
	s_delay_alu instid0(VALU_DEP_1) | instskip(SKIP_1) | instid1(VALU_DEP_1)
	v_mad_u64_u32 v[10:11], null, s13, s2, v[0:1]
	v_mov_b32_e32 v11, v9
	v_cmp_gt_i64_e32 vcc_lo, s[34:35], v[10:11]
	s_and_b32 exec_lo, exec_lo, vcc_lo
	s_cbranch_execz .LBB0_33
; %bb.10:
	s_ashr_i32 s13, s21, 31
	v_cmp_gt_i32_e64 s2, s16, v6
	v_cmp_gt_i64_e32 vcc_lo, s[12:13], v[4:5]
	v_cmp_gt_i32_e64 s3, s20, v3
	s_delay_alu instid0(VALU_DEP_3)
	s_and_b32 s2, s2, vcc_lo
	s_delay_alu instid0(VALU_DEP_1) | instid1(SALU_CYCLE_1)
	s_and_b32 s2, s2, s3
	s_delay_alu instid0(SALU_CYCLE_1)
	s_and_b32 exec_lo, exec_lo, s2
	s_cbranch_execz .LBB0_33
; %bb.11:
	s_max_u32 s2, s5, 1
	v_mul_lo_u32 v0, v4, s27
	v_cvt_f32_u32_e32 v7, s2
	s_max_u32 s22, s7, 1
	s_max_u32 s3, s6, 1
	v_cvt_f32_u32_e32 v13, s22
	v_mul_lo_u32 v19, v8, s28
	v_rcp_iflag_f32_e32 v7, v7
	v_cvt_f32_u32_e32 v12, s3
	v_subrev_nc_u32_e32 v22, s30, v0
	v_rcp_iflag_f32_e32 v13, v13
	v_mul_lo_u32 v18, v10, s29
	s_sub_i32 s8, 0, s2
	v_rcp_iflag_f32_e32 v12, v12
	v_subrev_nc_u32_e32 v20, s31, v19
	v_max_i32_e32 v14, 0, v22
	s_sub_i32 s9, 0, s3
	v_mul_f32_e32 v7, 0x4f7ffffe, v7
	s_sub_i32 s10, 0, s22
	v_subrev_nc_u32_e32 v21, s4, v18
	v_max_i32_e32 v15, 0, v20
	v_dual_mul_f32 v13, 0x4f7ffffe, v13 :: v_dual_add_nc_u32 v14, s30, v14
	s_delay_alu instid0(TRANS32_DEP_1)
	v_mul_f32_e32 v12, 0x4f7ffffe, v12
	v_cvt_u32_f32_e32 v7, v7
	v_max_i32_e32 v16, 0, v21
	v_add_nc_u32_e32 v15, s31, v15
	v_cmp_ne_u32_e32 vcc_lo, v14, v0
	v_cvt_u32_f32_e32 v12, v12
	v_mul_lo_u32 v17, s8, v7
	v_cvt_u32_f32_e32 v29, v13
	v_add_nc_u32_e32 v16, s4, v16
	v_cndmask_b32_e64 v23, 0, 1, vcc_lo
	v_cmp_ne_u32_e32 vcc_lo, v15, v19
	v_mul_lo_u32 v13, s9, v12
	v_mul_lo_u32 v27, s10, v29
	s_load_b128 s[8:11], s[0:1], 0x0
	v_mul_hi_u32 v17, v7, v17
	v_cndmask_b32_e64 v24, 0, 1, vcc_lo
	v_cmp_ne_u32_e32 vcc_lo, v16, v18
	v_add_nc_u32_e32 v26, v0, v23
	s_mov_b32 s23, 0
	v_mul_hi_u32 v28, v12, v13
	v_mul_hi_u32 v30, v29, v27
	v_cndmask_b32_e64 v25, 0, 1, vcc_lo
	v_sub_nc_u32_e32 v26, v14, v26
	v_add_nc_u32_e32 v7, v7, v17
	v_add_nc_u32_e32 v17, v19, v24
	s_and_not1_b32 vcc_lo, exec_lo, s36
	v_add_nc_u32_e32 v31, v18, v25
	s_delay_alu instid0(VALU_DEP_3) | instskip(NEXT) | instid1(VALU_DEP_3)
	v_mad_u64_u32 v[13:14], null, v26, v7, 0
	v_sub_nc_u32_e32 v27, v15, v17
	v_add_nc_u32_e32 v7, v12, v28
	s_delay_alu instid0(VALU_DEP_4) | instskip(SKIP_1) | instid1(VALU_DEP_3)
	v_sub_nc_u32_e32 v28, v16, v31
	v_add_nc_u32_e32 v12, v29, v30
	v_mad_u64_u32 v[16:17], null, v27, v7, 0
	s_delay_alu instid0(VALU_DEP_2)
	v_mad_u64_u32 v[15:16], null, v28, v12, 0
	s_cbranch_vccnz .LBB0_14
; %bb.12:
	s_ashr_i32 s20, s19, 31
	s_mul_i32 s21, s18, s17
	s_mul_hi_i32 s28, s18, s17
	s_mul_i32 s20, s21, s20
	s_mul_hi_u32 s27, s21, s19
	s_mul_i32 s28, s28, s19
	s_add_i32 s20, s27, s20
	s_mul_i32 s21, s21, s19
	s_add_i32 s20, s20, s28
	v_mul_lo_u32 v7, s21, v2
	v_mad_u64_u32 v[12:13], null, s21, v1, 0
	v_mul_lo_u32 v15, s20, v1
	s_delay_alu instid0(VALU_DEP_1) | instskip(NEXT) | instid1(VALU_DEP_1)
	v_add3_u32 v13, v13, v7, v15
	v_lshlrev_b64 v[12:13], 3, v[12:13]
	s_waitcnt lgkmcnt(0)
	s_delay_alu instid0(VALU_DEP_1) | instskip(NEXT) | instid1(VALU_DEP_2)
	v_add_co_u32 v12, vcc_lo, s8, v12
	v_add_co_ci_u32_e32 v13, vcc_lo, s9, v13, vcc_lo
	s_load_b64 s[20:21], s[0:1], 0x10
	v_ashrrev_i32_e32 v7, 31, v6
	s_and_not1_b32 vcc_lo, exec_lo, s23
	s_cbranch_vccz .LBB0_15
	s_branch .LBB0_16
.LBB0_13:
                                        ; implicit-def: $vgpr3_vgpr4
	s_branch .LBB0_6
.LBB0_14:
                                        ; implicit-def: $vgpr12_vgpr13
	s_load_b64 s[20:21], s[0:1], 0x10
	v_ashrrev_i32_e32 v7, 31, v6
.LBB0_15:
	s_ashr_i32 s0, s18, 31
	s_mul_i32 s1, s17, s16
	s_mul_hi_i32 s28, s17, s16
	s_mul_i32 s0, s1, s0
	s_mul_hi_u32 s27, s1, s18
	s_ashr_i32 s23, s19, 31
	s_add_i32 s0, s27, s0
	s_mul_i32 s1, s1, s18
	s_mul_i32 s28, s28, s18
	;; [unrolled: 1-line block ×3, first 2 shown]
	s_mul_hi_u32 s27, s1, s19
	s_add_i32 s0, s0, s28
	v_ashrrev_i32_e32 v12, 31, v3
	s_add_i32 s23, s27, s23
	s_mul_i32 s0, s0, s19
	s_mul_i32 s1, s1, s19
	s_add_i32 s23, s23, s0
	v_mul_lo_u32 v29, s1, v12
	v_mul_lo_u32 v15, s23, v3
	v_mad_u64_u32 v[12:13], null, s1, v3, 0
	s_delay_alu instid0(VALU_DEP_1) | instskip(SKIP_1) | instid1(VALU_DEP_2)
	v_add3_u32 v13, v13, v29, v15
	v_lshlrev_b64 v[29:30], 3, v[6:7]
	v_lshlrev_b64 v[12:13], 3, v[12:13]
	s_waitcnt lgkmcnt(0)
	s_delay_alu instid0(VALU_DEP_1) | instskip(NEXT) | instid1(VALU_DEP_2)
	v_add_co_u32 v12, vcc_lo, s8, v12
	v_add_co_ci_u32_e32 v13, vcc_lo, s9, v13, vcc_lo
	s_delay_alu instid0(VALU_DEP_2) | instskip(NEXT) | instid1(VALU_DEP_2)
	v_add_co_u32 v12, vcc_lo, v12, v29
	v_add_co_ci_u32_e32 v13, vcc_lo, v13, v30, vcc_lo
.LBB0_16:
	v_mul_lo_u32 v15, v14, s2
	v_mul_lo_u32 v29, v17, s3
	;; [unrolled: 1-line block ×3, first 2 shown]
	v_add_nc_u32_e32 v31, 1, v14
	s_waitcnt lgkmcnt(0)
	s_mov_b32 s8, exec_lo
	s_delay_alu instid0(VALU_DEP_4) | instskip(NEXT) | instid1(VALU_DEP_4)
	v_sub_nc_u32_e32 v15, v26, v15
	v_sub_nc_u32_e32 v27, v27, v29
	s_delay_alu instid0(VALU_DEP_4) | instskip(SKIP_1) | instid1(VALU_DEP_4)
	v_sub_nc_u32_e32 v28, v28, v30
	v_add_nc_u32_e32 v26, 1, v17
	v_cmp_le_u32_e32 vcc_lo, s2, v15
	v_subrev_nc_u32_e32 v29, s2, v15
	v_add_nc_u32_e32 v32, 1, v16
	v_cmp_le_u32_e64 s0, s3, v27
	v_cmp_le_u32_e64 s1, s22, v28
	v_subrev_nc_u32_e32 v30, s22, v28
	v_cndmask_b32_e32 v15, v15, v29, vcc_lo
	s_delay_alu instid0(VALU_DEP_4)
	v_cndmask_b32_e64 v17, v17, v26, s0
	v_cndmask_b32_e32 v14, v14, v31, vcc_lo
	v_subrev_nc_u32_e32 v26, s3, v27
	v_cndmask_b32_e64 v16, v16, v32, s1
	v_cmp_le_u32_e32 vcc_lo, s2, v15
	v_cndmask_b32_e64 v15, v28, v30, s1
	s_delay_alu instid0(VALU_DEP_4) | instskip(SKIP_4) | instid1(SALU_CYCLE_1)
	v_cndmask_b32_e64 v26, v27, v26, s0
	v_add_nc_u32_e32 v27, 1, v17
	v_add_nc_u32_e32 v28, 1, v16
	;; [unrolled: 1-line block ×3, first 2 shown]
	s_add_i32 s0, s24, -1
	s_mul_i32 s0, s0, s5
	s_delay_alu instid0(VALU_DEP_1) | instskip(SKIP_1) | instid1(VALU_DEP_2)
	v_cndmask_b32_e32 v14, v14, v29, vcc_lo
	v_cmp_le_u32_e32 vcc_lo, s3, v26
	v_add_nc_u32_e32 v23, v14, v23
	v_cndmask_b32_e32 v17, v17, v27, vcc_lo
	v_cmp_le_u32_e32 vcc_lo, s22, v15
	s_delay_alu instid0(VALU_DEP_3) | instskip(SKIP_1) | instid1(VALU_DEP_4)
	v_mad_u64_u32 v[14:15], null, v23, s5, v[0:1]
	v_cndmask_b32_e32 v16, v16, v28, vcc_lo
	v_add_nc_u32_e32 v17, v17, v24
	s_delay_alu instid0(VALU_DEP_2) | instskip(NEXT) | instid1(VALU_DEP_2)
	v_add_nc_u32_e32 v0, v16, v25
	v_mul_lo_u32 v27, v17, s6
	v_subrev_nc_u32_e32 v23, s30, v14
	v_add3_u32 v17, s0, 1, v22
	s_delay_alu instid0(VALU_DEP_4) | instskip(NEXT) | instid1(VALU_DEP_3)
	v_mul_lo_u32 v26, v0, s7
	v_mul_lo_u32 v28, v23, s18
	s_delay_alu instid0(VALU_DEP_3) | instskip(SKIP_1) | instid1(VALU_DEP_4)
	v_min_i32_e32 v25, s17, v17
	v_add_nc_u32_e32 v0, v27, v19
	v_add_nc_u32_e32 v14, v26, v18
	s_delay_alu instid0(VALU_DEP_2) | instskip(NEXT) | instid1(VALU_DEP_2)
	v_subrev_nc_u32_e32 v24, s31, v0
	v_subrev_nc_u32_e32 v0, s4, v14
	s_delay_alu instid0(VALU_DEP_2) | instskip(NEXT) | instid1(VALU_DEP_1)
	v_add_nc_u32_e32 v16, v24, v28
	v_mad_u64_u32 v[14:15], null, v16, s19, v[0:1]
	v_mov_b32_e32 v16, 0
	v_mov_b32_e32 v17, 0xfff00000
	s_delay_alu instid0(VALU_DEP_3)
	v_ashrrev_i32_e32 v15, 31, v14
	v_cmpx_lt_i32_e64 v23, v25
	s_cbranch_execz .LBB0_28
; %bb.17:
	v_add3_u32 v16, v28, v19, v27
	s_add_i32 s0, s25, -1
	s_add_i32 s1, s26, -1
	s_mul_i32 s0, s0, s6
	s_mul_i32 s1, s1, s7
	v_subrev_nc_u32_e32 v16, s31, v16
	v_add3_u32 v17, s0, 1, v20
	v_add3_u32 v19, s1, 1, v21
	s_and_b32 s0, exec_lo, s33
	s_mul_i32 s2, s5, s19
	v_mul_lo_u32 v16, s19, v16
	s_mul_i32 s9, s6, s19
	v_min_i32_e32 v27, s19, v19
	s_cselect_b32 s19, s16, 1
	s_ashr_i32 s22, s7, 31
	s_mov_b32 s24, s7
	s_mov_b32 s23, 0
	v_cmp_lt_i32_e64 s0, v0, v27
	v_add3_u32 v16, v16, v18, v26
	v_min_i32_e32 v26, s18, v17
	s_delay_alu instid0(VALU_DEP_2) | instskip(SKIP_1) | instid1(VALU_DEP_3)
	v_subrev_nc_u32_e32 v28, s4, v16
	v_mov_b32_e32 v16, 0
	v_cmp_lt_i32_e32 vcc_lo, v24, v26
	v_mov_b32_e32 v17, 0xfff00000
	s_mul_i32 s4, s2, s18
	v_mul_lo_u32 v29, s19, v28
	s_mul_i32 s17, s4, s19
	s_mul_i32 s18, s9, s19
	s_mul_i32 s19, s19, s7
	s_branch .LBB0_20
.LBB0_18:                               ;   in Loop: Header=BB0_20 Depth=1
	s_or_b32 exec_lo, exec_lo, s26
.LBB0_19:                               ;   in Loop: Header=BB0_20 Depth=1
	s_delay_alu instid0(SALU_CYCLE_1) | instskip(SKIP_3) | instid1(VALU_DEP_3)
	s_or_b32 exec_lo, exec_lo, s25
	v_add_nc_u32_e32 v23, s5, v23
	v_add_nc_u32_e32 v29, s17, v29
	;; [unrolled: 1-line block ×3, first 2 shown]
	v_cmp_ge_i32_e64 s1, v23, v25
	s_delay_alu instid0(VALU_DEP_1) | instskip(NEXT) | instid1(SALU_CYCLE_1)
	s_or_b32 s23, s1, s23
	s_and_not1_b32 exec_lo, exec_lo, s23
	s_cbranch_execz .LBB0_27
.LBB0_20:                               ; =>This Loop Header: Depth=1
                                        ;     Child Loop BB0_23 Depth 2
                                        ;       Child Loop BB0_25 Depth 3
	s_and_saveexec_b32 s25, vcc_lo
	s_cbranch_execz .LBB0_19
; %bb.21:                               ;   in Loop: Header=BB0_20 Depth=1
	v_mov_b32_e32 v18, v28
	v_dual_mov_b32 v30, v29 :: v_dual_mov_b32 v31, v24
	s_mov_b32 s26, 0
	s_branch .LBB0_23
.LBB0_22:                               ;   in Loop: Header=BB0_23 Depth=2
	s_or_b32 exec_lo, exec_lo, s27
	v_add_nc_u32_e32 v31, s6, v31
	v_add_nc_u32_e32 v30, s18, v30
	;; [unrolled: 1-line block ×3, first 2 shown]
	s_delay_alu instid0(VALU_DEP_3) | instskip(NEXT) | instid1(VALU_DEP_1)
	v_cmp_ge_i32_e64 s1, v31, v26
	s_or_b32 s26, s1, s26
	s_delay_alu instid0(SALU_CYCLE_1)
	s_and_not1_b32 exec_lo, exec_lo, s26
	s_cbranch_execz .LBB0_18
.LBB0_23:                               ;   Parent Loop BB0_20 Depth=1
                                        ; =>  This Loop Header: Depth=2
                                        ;       Child Loop BB0_25 Depth 3
	s_delay_alu instid0(VALU_DEP_2)
	v_ashrrev_i32_e32 v19, 31, v18
	s_and_saveexec_b32 s27, s0
	s_cbranch_execz .LBB0_22
; %bb.24:                               ;   in Loop: Header=BB0_23 Depth=2
	s_delay_alu instid0(VALU_DEP_1)
	v_dual_mov_b32 v20, v19 :: v_dual_mov_b32 v21, v30
	v_dual_mov_b32 v19, v18 :: v_dual_mov_b32 v32, v0
	s_mov_b32 s28, 0
	s_set_inst_prefetch_distance 0x1
	.p2align	6
.LBB0_25:                               ;   Parent Loop BB0_20 Depth=1
                                        ;     Parent Loop BB0_23 Depth=2
                                        ; =>    This Inner Loop Header: Depth=3
	s_delay_alu instid0(VALU_DEP_2) | instskip(NEXT) | instid1(VALU_DEP_2)
	v_ashrrev_i32_e32 v22, 31, v21
	v_add_nc_u32_e32 v32, s7, v32
	s_delay_alu instid0(VALU_DEP_2) | instskip(NEXT) | instid1(VALU_DEP_2)
	v_lshlrev_b64 v[33:34], 3, v[21:22]
	v_cmp_ge_i32_e64 s3, v32, v27
	v_add_nc_u32_e32 v21, s19, v21
	s_delay_alu instid0(VALU_DEP_3) | instskip(NEXT) | instid1(VALU_DEP_1)
	v_add_co_u32 v33, s1, v12, v33
	v_add_co_ci_u32_e64 v34, s1, v13, v34, s1
	global_load_b64 v[33:34], v[33:34], off
	s_waitcnt vmcnt(0)
	v_cmp_lt_f64_e64 s1, v[16:17], v[33:34]
	v_cmp_u_f64_e64 s2, v[33:34], v[33:34]
	s_delay_alu instid0(VALU_DEP_1)
	s_or_b32 s1, s1, s2
	s_or_b32 s28, s3, s28
	v_cndmask_b32_e64 v15, v15, v20, s1
	v_cndmask_b32_e64 v14, v14, v19, s1
	;; [unrolled: 1-line block ×4, first 2 shown]
	v_add_co_u32 v19, s1, v19, s24
	s_delay_alu instid0(VALU_DEP_1)
	v_add_co_ci_u32_e64 v20, s1, s22, v20, s1
	s_and_not1_b32 exec_lo, exec_lo, s28
	s_cbranch_execnz .LBB0_25
; %bb.26:                               ;   in Loop: Header=BB0_23 Depth=2
	s_set_inst_prefetch_distance 0x2
	s_or_b32 exec_lo, exec_lo, s28
	s_branch .LBB0_22
.LBB0_27:
	s_or_b32 exec_lo, exec_lo, s23
.LBB0_28:
	s_delay_alu instid0(SALU_CYCLE_1) | instskip(NEXT) | instid1(SALU_CYCLE_1)
	s_or_b32 exec_lo, exec_lo, s8
	s_and_b32 vcc_lo, exec_lo, s36
	s_cbranch_vccz .LBB0_30
; %bb.29:
	v_mad_u64_u32 v[12:13], null, v1, s12, v[4:5]
	v_mul_lo_u32 v0, v1, s13
	v_mul_lo_u32 v1, v2, s12
	s_delay_alu instid0(VALU_DEP_3) | instskip(NEXT) | instid1(VALU_DEP_2)
	v_mad_u64_u32 v[18:19], null, v12, s14, v[8:9]
	v_add3_u32 v0, v1, v13, v0
	v_mul_lo_u32 v1, v12, s15
	s_delay_alu instid0(VALU_DEP_2) | instskip(NEXT) | instid1(VALU_DEP_4)
	v_mul_lo_u32 v0, v0, s14
	v_mul_lo_u32 v2, v18, s35
	s_delay_alu instid0(VALU_DEP_2) | instskip(NEXT) | instid1(VALU_DEP_1)
	v_add3_u32 v0, v0, v19, v1
	v_mul_lo_u32 v12, v0, s34
	v_mad_u64_u32 v[0:1], null, v18, s34, v[10:11]
	s_delay_alu instid0(VALU_DEP_1)
	v_add3_u32 v1, v12, v1, v2
	s_cbranch_execz .LBB0_31
	s_branch .LBB0_32
.LBB0_30:
                                        ; implicit-def: $vgpr0_vgpr1
.LBB0_31:
	v_mad_i64_i32 v[0:1], null, v3, s12, v[4:5]
	s_ashr_i32 s0, s16, 31
	s_delay_alu instid0(VALU_DEP_1) | instskip(NEXT) | instid1(VALU_DEP_2)
	v_mul_lo_u32 v3, v0, s15
	v_mul_lo_u32 v4, v1, s14
	v_mad_u64_u32 v[1:2], null, v0, s14, v[8:9]
	s_delay_alu instid0(VALU_DEP_1) | instskip(NEXT) | instid1(VALU_DEP_2)
	v_add3_u32 v0, v4, v2, v3
	v_mul_lo_u32 v4, v1, s35
	v_mad_u64_u32 v[2:3], null, v1, s34, v[10:11]
	s_delay_alu instid0(VALU_DEP_3) | instskip(NEXT) | instid1(VALU_DEP_1)
	v_mul_lo_u32 v0, v0, s34
	v_add3_u32 v0, v0, v3, v4
	s_delay_alu instid0(VALU_DEP_3) | instskip(NEXT) | instid1(VALU_DEP_2)
	v_mul_lo_u32 v3, v2, s0
	v_mul_lo_u32 v4, v0, s16
	v_mad_u64_u32 v[0:1], null, v2, s16, v[6:7]
	s_delay_alu instid0(VALU_DEP_1)
	v_add3_u32 v1, v4, v1, v3
.LBB0_32:
	s_delay_alu instid0(VALU_DEP_1) | instskip(NEXT) | instid1(VALU_DEP_1)
	v_lshlrev_b64 v[0:1], 3, v[0:1]
	v_add_co_u32 v2, vcc_lo, s10, v0
	s_delay_alu instid0(VALU_DEP_2)
	v_add_co_ci_u32_e32 v3, vcc_lo, s11, v1, vcc_lo
	v_add_co_u32 v0, vcc_lo, s20, v0
	v_add_co_ci_u32_e32 v1, vcc_lo, s21, v1, vcc_lo
	global_store_b64 v[2:3], v[16:17], off
	global_store_b64 v[0:1], v[14:15], off
.LBB0_33:
	s_nop 0
	s_sendmsg sendmsg(MSG_DEALLOC_VGPRS)
	s_endpgm
	.section	.rodata,"a",@progbits
	.p2align	6, 0x0
	.amdhsa_kernel _ZN2at6native12_GLOBAL__N_140max_pool3d_with_indices_single_out_frameIdEEvPKT_PS3_Pliiiiiiiiiiiiiiiiiiiiib
		.amdhsa_group_segment_fixed_size 0
		.amdhsa_private_segment_fixed_size 0
		.amdhsa_kernarg_size 368
		.amdhsa_user_sgpr_count 13
		.amdhsa_user_sgpr_dispatch_ptr 0
		.amdhsa_user_sgpr_queue_ptr 0
		.amdhsa_user_sgpr_kernarg_segment_ptr 1
		.amdhsa_user_sgpr_dispatch_id 0
		.amdhsa_user_sgpr_private_segment_size 0
		.amdhsa_wavefront_size32 1
		.amdhsa_uses_dynamic_stack 0
		.amdhsa_enable_private_segment 0
		.amdhsa_system_sgpr_workgroup_id_x 1
		.amdhsa_system_sgpr_workgroup_id_y 1
		.amdhsa_system_sgpr_workgroup_id_z 1
		.amdhsa_system_sgpr_workgroup_info 0
		.amdhsa_system_vgpr_workitem_id 2
		.amdhsa_next_free_vgpr 35
		.amdhsa_next_free_sgpr 38
		.amdhsa_reserve_vcc 1
		.amdhsa_float_round_mode_32 0
		.amdhsa_float_round_mode_16_64 0
		.amdhsa_float_denorm_mode_32 3
		.amdhsa_float_denorm_mode_16_64 3
		.amdhsa_dx10_clamp 1
		.amdhsa_ieee_mode 1
		.amdhsa_fp16_overflow 0
		.amdhsa_workgroup_processor_mode 1
		.amdhsa_memory_ordered 1
		.amdhsa_forward_progress 0
		.amdhsa_shared_vgpr_count 0
		.amdhsa_exception_fp_ieee_invalid_op 0
		.amdhsa_exception_fp_denorm_src 0
		.amdhsa_exception_fp_ieee_div_zero 0
		.amdhsa_exception_fp_ieee_overflow 0
		.amdhsa_exception_fp_ieee_underflow 0
		.amdhsa_exception_fp_ieee_inexact 0
		.amdhsa_exception_int_div_zero 0
	.end_amdhsa_kernel
	.section	.text._ZN2at6native12_GLOBAL__N_140max_pool3d_with_indices_single_out_frameIdEEvPKT_PS3_Pliiiiiiiiiiiiiiiiiiiiib,"axG",@progbits,_ZN2at6native12_GLOBAL__N_140max_pool3d_with_indices_single_out_frameIdEEvPKT_PS3_Pliiiiiiiiiiiiiiiiiiiiib,comdat
.Lfunc_end0:
	.size	_ZN2at6native12_GLOBAL__N_140max_pool3d_with_indices_single_out_frameIdEEvPKT_PS3_Pliiiiiiiiiiiiiiiiiiiiib, .Lfunc_end0-_ZN2at6native12_GLOBAL__N_140max_pool3d_with_indices_single_out_frameIdEEvPKT_PS3_Pliiiiiiiiiiiiiiiiiiiiib
                                        ; -- End function
	.section	.AMDGPU.csdata,"",@progbits
; Kernel info:
; codeLenInByte = 3372
; NumSgprs: 40
; NumVgprs: 35
; ScratchSize: 0
; MemoryBound: 0
; FloatMode: 240
; IeeeMode: 1
; LDSByteSize: 0 bytes/workgroup (compile time only)
; SGPRBlocks: 4
; VGPRBlocks: 4
; NumSGPRsForWavesPerEU: 40
; NumVGPRsForWavesPerEU: 35
; Occupancy: 16
; WaveLimiterHint : 0
; COMPUTE_PGM_RSRC2:SCRATCH_EN: 0
; COMPUTE_PGM_RSRC2:USER_SGPR: 13
; COMPUTE_PGM_RSRC2:TRAP_HANDLER: 0
; COMPUTE_PGM_RSRC2:TGID_X_EN: 1
; COMPUTE_PGM_RSRC2:TGID_Y_EN: 1
; COMPUTE_PGM_RSRC2:TGID_Z_EN: 1
; COMPUTE_PGM_RSRC2:TIDIG_COMP_CNT: 2
	.section	.text._ZN2at6native12_GLOBAL__N_140max_pool3d_with_indices_single_out_frameIfEEvPKT_PS3_Pliiiiiiiiiiiiiiiiiiiiib,"axG",@progbits,_ZN2at6native12_GLOBAL__N_140max_pool3d_with_indices_single_out_frameIfEEvPKT_PS3_Pliiiiiiiiiiiiiiiiiiiiib,comdat
	.globl	_ZN2at6native12_GLOBAL__N_140max_pool3d_with_indices_single_out_frameIfEEvPKT_PS3_Pliiiiiiiiiiiiiiiiiiiiib ; -- Begin function _ZN2at6native12_GLOBAL__N_140max_pool3d_with_indices_single_out_frameIfEEvPKT_PS3_Pliiiiiiiiiiiiiiiiiiiiib
	.p2align	8
	.type	_ZN2at6native12_GLOBAL__N_140max_pool3d_with_indices_single_out_frameIfEEvPKT_PS3_Pliiiiiiiiiiiiiiiiiiiiib,@function
_ZN2at6native12_GLOBAL__N_140max_pool3d_with_indices_single_out_frameIfEEvPKT_PS3_Pliiiiiiiiiiiiiiiiiiiiib: ; @_ZN2at6native12_GLOBAL__N_140max_pool3d_with_indices_single_out_frameIfEEvPKT_PS3_Pliiiiiiiiiiiiiiiiiiiiib
; %bb.0:
	s_clause 0x3
	s_load_b64 s[2:3], s[0:1], 0x68
	s_load_b64 s[8:9], s[0:1], 0x7c
	s_load_b512 s[16:31], s[0:1], 0x18
	s_load_b128 s[4:7], s[0:1], 0x58
	v_bfe_u32 v1, v0, 20, 10
	s_waitcnt lgkmcnt(0)
	s_bitcmp1_b32 s3, 0
	s_cselect_b32 s33, -1, 0
	s_and_b32 s3, s9, 0xffff
	s_mov_b32 s12, s21
	s_mul_i32 s15, s15, s3
	s_and_b32 vcc_lo, exec_lo, s33
	v_add3_u32 v7, s15, s2, v1
	s_mov_b32 s2, -1
	s_cbranch_vccnz .LBB1_2
; %bb.1:
	v_cvt_f32_u32_e32 v1, s21
	s_sub_i32 s2, 0, s21
	v_mov_b32_e32 v5, 0
	s_delay_alu instid0(VALU_DEP_2) | instskip(SKIP_2) | instid1(VALU_DEP_1)
	v_rcp_iflag_f32_e32 v1, v1
	s_waitcnt_depctr 0xfff
	v_mul_f32_e32 v1, 0x4f7ffffe, v1
	v_cvt_u32_f32_e32 v1, v1
	s_delay_alu instid0(VALU_DEP_1) | instskip(SKIP_1) | instid1(VALU_DEP_1)
	v_mul_lo_u32 v2, s2, v1
	s_mov_b32 s2, 0
	v_mul_hi_u32 v2, v1, v2
	s_delay_alu instid0(VALU_DEP_1) | instskip(NEXT) | instid1(VALU_DEP_1)
	v_add_nc_u32_e32 v1, v1, v2
	v_mul_hi_u32 v1, v7, v1
	s_delay_alu instid0(VALU_DEP_1) | instskip(SKIP_1) | instid1(VALU_DEP_2)
	v_mul_lo_u32 v2, v1, s21
	v_add_nc_u32_e32 v3, 1, v1
	v_sub_nc_u32_e32 v2, v7, v2
	s_delay_alu instid0(VALU_DEP_1) | instskip(SKIP_1) | instid1(VALU_DEP_2)
	v_subrev_nc_u32_e32 v4, s21, v2
	v_cmp_le_u32_e32 vcc_lo, s21, v2
	v_dual_cndmask_b32 v1, v1, v3 :: v_dual_cndmask_b32 v2, v2, v4
	s_delay_alu instid0(VALU_DEP_1) | instskip(NEXT) | instid1(VALU_DEP_2)
	v_add_nc_u32_e32 v3, 1, v1
	v_cmp_le_u32_e32 vcc_lo, s21, v2
	s_delay_alu instid0(VALU_DEP_2) | instskip(NEXT) | instid1(VALU_DEP_1)
	v_cndmask_b32_e32 v1, v1, v3, vcc_lo
	v_mul_lo_u32 v2, v1, s21
	s_delay_alu instid0(VALU_DEP_1)
	v_sub_nc_u32_e32 v4, v7, v2
	v_mov_b32_e32 v2, v5
	s_branch .LBB1_3
.LBB1_2:
                                        ; implicit-def: $vgpr4_vgpr5
                                        ; implicit-def: $vgpr1_vgpr2
.LBB1_3:
	v_cndmask_b32_e64 v6, 0, 1, s2
	v_mov_b32_e32 v3, s2
	s_delay_alu instid0(VALU_DEP_2)
	v_cmp_ne_u32_e32 vcc_lo, 1, v6
	v_mov_b32_e32 v6, s2
	s_cbranch_vccnz .LBB1_8
; %bb.4:
	v_cvt_f32_u32_e32 v1, s16
	s_sub_i32 s2, 0, s16
	s_ashr_i32 s3, s21, 31
	s_mov_b32 s10, 0
	s_mov_b32 s11, s3
	v_rcp_iflag_f32_e32 v1, v1
	s_cmp_lg_u64 s[10:11], 0
	s_waitcnt_depctr 0xfff
	v_mul_f32_e32 v1, 0x4f7ffffe, v1
	s_delay_alu instid0(VALU_DEP_1) | instskip(NEXT) | instid1(VALU_DEP_1)
	v_cvt_u32_f32_e32 v1, v1
	v_mul_lo_u32 v2, s2, v1
	s_delay_alu instid0(VALU_DEP_1) | instskip(NEXT) | instid1(VALU_DEP_1)
	v_mul_hi_u32 v2, v1, v2
	v_add_nc_u32_e32 v1, v1, v2
	s_delay_alu instid0(VALU_DEP_1) | instskip(NEXT) | instid1(VALU_DEP_1)
	v_mul_hi_u32 v1, v7, v1
	v_mul_lo_u32 v2, v1, s16
	v_add_nc_u32_e32 v3, 1, v1
	s_delay_alu instid0(VALU_DEP_2) | instskip(NEXT) | instid1(VALU_DEP_1)
	v_sub_nc_u32_e32 v2, v7, v2
	v_subrev_nc_u32_e32 v4, s16, v2
	v_cmp_le_u32_e32 vcc_lo, s16, v2
	s_delay_alu instid0(VALU_DEP_4) | instskip(NEXT) | instid1(VALU_DEP_3)
	v_cndmask_b32_e32 v1, v1, v3, vcc_lo
	v_dual_cndmask_b32 v3, v2, v4 :: v_dual_mov_b32 v2, 0
	s_delay_alu instid0(VALU_DEP_2) | instskip(NEXT) | instid1(VALU_DEP_2)
	v_add_nc_u32_e32 v4, 1, v1
	v_cmp_le_u32_e32 vcc_lo, s16, v3
	s_delay_alu instid0(VALU_DEP_2)
	v_cndmask_b32_e32 v1, v1, v4, vcc_lo
	s_cbranch_scc0 .LBB1_13
; %bb.5:
	s_add_u32 s36, s12, s3
	s_mov_b32 s34, s3
	s_mov_b32 s35, s3
	s_addc_u32 s37, s3, s3
	s_delay_alu instid0(SALU_CYCLE_1) | instskip(NEXT) | instid1(SALU_CYCLE_1)
	s_xor_b64 s[36:37], s[36:37], s[34:35]
	v_cvt_f32_u32_e32 v3, s36
	v_cvt_f32_u32_e32 v4, s37
	s_sub_u32 s2, 0, s36
	s_subb_u32 s9, 0, s37
	s_delay_alu instid0(VALU_DEP_1) | instskip(NEXT) | instid1(VALU_DEP_1)
	v_fmamk_f32 v3, v4, 0x4f800000, v3
	v_rcp_f32_e32 v3, v3
	s_waitcnt_depctr 0xfff
	v_mul_f32_e32 v3, 0x5f7ffffc, v3
	s_delay_alu instid0(VALU_DEP_1) | instskip(NEXT) | instid1(VALU_DEP_1)
	v_mul_f32_e32 v4, 0x2f800000, v3
	v_trunc_f32_e32 v4, v4
	s_delay_alu instid0(VALU_DEP_1) | instskip(SKIP_1) | instid1(VALU_DEP_2)
	v_fmamk_f32 v3, v4, 0xcf800000, v3
	v_cvt_u32_f32_e32 v4, v4
	v_cvt_u32_f32_e32 v3, v3
	s_delay_alu instid0(VALU_DEP_2) | instskip(NEXT) | instid1(VALU_DEP_2)
	v_mul_lo_u32 v5, s2, v4
	v_mul_hi_u32 v6, s2, v3
	v_mul_lo_u32 v8, s9, v3
	s_delay_alu instid0(VALU_DEP_2) | instskip(SKIP_1) | instid1(VALU_DEP_2)
	v_add_nc_u32_e32 v5, v6, v5
	v_mul_lo_u32 v6, s2, v3
	v_add_nc_u32_e32 v5, v5, v8
	s_delay_alu instid0(VALU_DEP_2) | instskip(NEXT) | instid1(VALU_DEP_2)
	v_mul_hi_u32 v8, v3, v6
	v_mul_lo_u32 v9, v3, v5
	v_mul_hi_u32 v10, v3, v5
	v_mul_hi_u32 v11, v4, v6
	v_mul_lo_u32 v6, v4, v6
	v_mul_hi_u32 v12, v4, v5
	v_mul_lo_u32 v5, v4, v5
	v_add_co_u32 v8, vcc_lo, v8, v9
	v_add_co_ci_u32_e32 v9, vcc_lo, 0, v10, vcc_lo
	s_delay_alu instid0(VALU_DEP_2) | instskip(NEXT) | instid1(VALU_DEP_2)
	v_add_co_u32 v6, vcc_lo, v8, v6
	v_add_co_ci_u32_e32 v6, vcc_lo, v9, v11, vcc_lo
	v_add_co_ci_u32_e32 v8, vcc_lo, 0, v12, vcc_lo
	s_delay_alu instid0(VALU_DEP_2) | instskip(NEXT) | instid1(VALU_DEP_2)
	v_add_co_u32 v5, vcc_lo, v6, v5
	v_add_co_ci_u32_e32 v6, vcc_lo, 0, v8, vcc_lo
	s_delay_alu instid0(VALU_DEP_2) | instskip(NEXT) | instid1(VALU_DEP_2)
	v_add_co_u32 v3, vcc_lo, v3, v5
	v_add_co_ci_u32_e32 v4, vcc_lo, v4, v6, vcc_lo
	s_delay_alu instid0(VALU_DEP_2) | instskip(SKIP_1) | instid1(VALU_DEP_3)
	v_mul_hi_u32 v5, s2, v3
	v_mul_lo_u32 v8, s9, v3
	v_mul_lo_u32 v6, s2, v4
	s_delay_alu instid0(VALU_DEP_1) | instskip(SKIP_1) | instid1(VALU_DEP_2)
	v_add_nc_u32_e32 v5, v5, v6
	v_mul_lo_u32 v6, s2, v3
	v_add_nc_u32_e32 v5, v5, v8
	s_delay_alu instid0(VALU_DEP_2) | instskip(NEXT) | instid1(VALU_DEP_2)
	v_mul_hi_u32 v8, v3, v6
	v_mul_lo_u32 v9, v3, v5
	v_mul_hi_u32 v10, v3, v5
	v_mul_hi_u32 v11, v4, v6
	v_mul_lo_u32 v6, v4, v6
	v_mul_hi_u32 v12, v4, v5
	v_mul_lo_u32 v5, v4, v5
	v_add_co_u32 v8, vcc_lo, v8, v9
	v_add_co_ci_u32_e32 v9, vcc_lo, 0, v10, vcc_lo
	s_delay_alu instid0(VALU_DEP_2) | instskip(NEXT) | instid1(VALU_DEP_2)
	v_add_co_u32 v6, vcc_lo, v8, v6
	v_add_co_ci_u32_e32 v6, vcc_lo, v9, v11, vcc_lo
	v_add_co_ci_u32_e32 v8, vcc_lo, 0, v12, vcc_lo
	s_delay_alu instid0(VALU_DEP_2) | instskip(NEXT) | instid1(VALU_DEP_2)
	v_add_co_u32 v5, vcc_lo, v6, v5
	v_add_co_ci_u32_e32 v6, vcc_lo, 0, v8, vcc_lo
	s_delay_alu instid0(VALU_DEP_2) | instskip(NEXT) | instid1(VALU_DEP_2)
	v_add_co_u32 v8, vcc_lo, v3, v5
	v_add_co_ci_u32_e32 v10, vcc_lo, v4, v6, vcc_lo
	s_delay_alu instid0(VALU_DEP_2) | instskip(SKIP_1) | instid1(VALU_DEP_3)
	v_mul_hi_u32 v11, v1, v8
	v_mad_u64_u32 v[5:6], null, 0, v8, 0
	v_mad_u64_u32 v[3:4], null, v1, v10, 0
	;; [unrolled: 1-line block ×3, first 2 shown]
	s_delay_alu instid0(VALU_DEP_2) | instskip(NEXT) | instid1(VALU_DEP_3)
	v_add_co_u32 v3, vcc_lo, v11, v3
	v_add_co_ci_u32_e32 v4, vcc_lo, 0, v4, vcc_lo
	s_delay_alu instid0(VALU_DEP_2) | instskip(NEXT) | instid1(VALU_DEP_2)
	v_add_co_u32 v3, vcc_lo, v3, v5
	v_add_co_ci_u32_e32 v3, vcc_lo, v4, v6, vcc_lo
	v_add_co_ci_u32_e32 v4, vcc_lo, 0, v9, vcc_lo
	s_delay_alu instid0(VALU_DEP_2) | instskip(NEXT) | instid1(VALU_DEP_2)
	v_add_co_u32 v5, vcc_lo, v3, v8
	v_add_co_ci_u32_e32 v6, vcc_lo, 0, v4, vcc_lo
	s_delay_alu instid0(VALU_DEP_2) | instskip(SKIP_1) | instid1(VALU_DEP_3)
	v_mul_lo_u32 v8, s37, v5
	v_mad_u64_u32 v[3:4], null, s36, v5, 0
	v_mul_lo_u32 v9, s36, v6
	s_delay_alu instid0(VALU_DEP_2) | instskip(NEXT) | instid1(VALU_DEP_2)
	v_sub_co_u32 v3, vcc_lo, v1, v3
	v_add3_u32 v4, v4, v9, v8
	s_delay_alu instid0(VALU_DEP_1) | instskip(NEXT) | instid1(VALU_DEP_1)
	v_sub_nc_u32_e32 v8, 0, v4
	v_subrev_co_ci_u32_e64 v8, s2, s37, v8, vcc_lo
	v_add_co_u32 v9, s2, v5, 2
	s_delay_alu instid0(VALU_DEP_1) | instskip(SKIP_3) | instid1(VALU_DEP_3)
	v_add_co_ci_u32_e64 v10, s2, 0, v6, s2
	v_sub_co_u32 v11, s2, v3, s36
	v_sub_co_ci_u32_e32 v4, vcc_lo, 0, v4, vcc_lo
	v_subrev_co_ci_u32_e64 v8, s2, 0, v8, s2
	v_cmp_le_u32_e32 vcc_lo, s36, v11
	s_delay_alu instid0(VALU_DEP_3) | instskip(SKIP_1) | instid1(VALU_DEP_4)
	v_cmp_eq_u32_e64 s2, s37, v4
	v_cndmask_b32_e64 v11, 0, -1, vcc_lo
	v_cmp_le_u32_e32 vcc_lo, s37, v8
	v_cndmask_b32_e64 v12, 0, -1, vcc_lo
	v_cmp_le_u32_e32 vcc_lo, s36, v3
	;; [unrolled: 2-line block ×3, first 2 shown]
	v_cndmask_b32_e64 v13, 0, -1, vcc_lo
	v_cmp_eq_u32_e32 vcc_lo, s37, v8
	s_delay_alu instid0(VALU_DEP_2) | instskip(SKIP_3) | instid1(VALU_DEP_3)
	v_cndmask_b32_e64 v3, v13, v3, s2
	v_cndmask_b32_e32 v8, v12, v11, vcc_lo
	v_add_co_u32 v11, vcc_lo, v5, 1
	v_add_co_ci_u32_e32 v12, vcc_lo, 0, v6, vcc_lo
	v_cmp_ne_u32_e32 vcc_lo, 0, v8
	s_delay_alu instid0(VALU_DEP_2) | instskip(NEXT) | instid1(VALU_DEP_4)
	v_cndmask_b32_e32 v4, v12, v10, vcc_lo
	v_cndmask_b32_e32 v8, v11, v9, vcc_lo
	v_cmp_ne_u32_e32 vcc_lo, 0, v3
	s_delay_alu instid0(VALU_DEP_3) | instskip(NEXT) | instid1(VALU_DEP_3)
	v_cndmask_b32_e32 v3, v6, v4, vcc_lo
	v_cndmask_b32_e32 v4, v5, v8, vcc_lo
	s_delay_alu instid0(VALU_DEP_2) | instskip(NEXT) | instid1(VALU_DEP_2)
	v_xor_b32_e32 v5, s35, v3
	v_xor_b32_e32 v4, s34, v4
	s_delay_alu instid0(VALU_DEP_1) | instskip(NEXT) | instid1(VALU_DEP_3)
	v_sub_co_u32 v3, vcc_lo, v4, s34
	v_subrev_co_ci_u32_e32 v4, vcc_lo, s35, v5, vcc_lo
	s_and_not1_b32 vcc_lo, exec_lo, s10
	s_cbranch_vccnz .LBB1_7
.LBB1_6:
	v_cvt_f32_u32_e32 v3, s12
	s_sub_i32 s2, 0, s12
	s_delay_alu instid0(VALU_DEP_1) | instskip(SKIP_2) | instid1(VALU_DEP_1)
	v_rcp_iflag_f32_e32 v3, v3
	s_waitcnt_depctr 0xfff
	v_mul_f32_e32 v3, 0x4f7ffffe, v3
	v_cvt_u32_f32_e32 v3, v3
	s_delay_alu instid0(VALU_DEP_1) | instskip(NEXT) | instid1(VALU_DEP_1)
	v_mul_lo_u32 v4, s2, v3
	v_mul_hi_u32 v4, v3, v4
	s_delay_alu instid0(VALU_DEP_1) | instskip(NEXT) | instid1(VALU_DEP_1)
	v_add_nc_u32_e32 v3, v3, v4
	v_mul_hi_u32 v3, v1, v3
	s_delay_alu instid0(VALU_DEP_1) | instskip(SKIP_1) | instid1(VALU_DEP_2)
	v_mul_lo_u32 v4, v3, s12
	v_add_nc_u32_e32 v5, 1, v3
	v_sub_nc_u32_e32 v4, v1, v4
	s_delay_alu instid0(VALU_DEP_1) | instskip(SKIP_1) | instid1(VALU_DEP_2)
	v_subrev_nc_u32_e32 v6, s12, v4
	v_cmp_le_u32_e32 vcc_lo, s12, v4
	v_dual_cndmask_b32 v4, v4, v6 :: v_dual_cndmask_b32 v3, v3, v5
	s_delay_alu instid0(VALU_DEP_1) | instskip(NEXT) | instid1(VALU_DEP_2)
	v_cmp_le_u32_e32 vcc_lo, s12, v4
	v_dual_mov_b32 v4, 0 :: v_dual_add_nc_u32 v5, 1, v3
	s_delay_alu instid0(VALU_DEP_1)
	v_cndmask_b32_e32 v3, v3, v5, vcc_lo
.LBB1_7:
	s_delay_alu instid0(VALU_DEP_1) | instskip(NEXT) | instid1(VALU_DEP_2)
	v_mul_lo_u32 v6, v4, s12
	v_mul_lo_u32 v8, v3, s3
	v_mad_u64_u32 v[4:5], null, v3, s12, 0
	v_mul_lo_u32 v9, v1, s16
	s_delay_alu instid0(VALU_DEP_2) | instskip(NEXT) | instid1(VALU_DEP_3)
	v_add3_u32 v5, v5, v8, v6
	v_sub_co_u32 v4, vcc_lo, v1, v4
	s_delay_alu instid0(VALU_DEP_3) | instskip(NEXT) | instid1(VALU_DEP_3)
	v_sub_nc_u32_e32 v6, v7, v9
	v_sub_co_ci_u32_e32 v5, vcc_lo, 0, v5, vcc_lo
.LBB1_8:
	v_bfe_u32 v7, v0, 10, 10
	s_lshr_b32 s2, s8, 16
	s_xor_b32 s36, s33, -1
	s_ashr_i32 s15, s22, 31
	s_delay_alu instid0(VALU_DEP_1) | instskip(SKIP_3) | instid1(VALU_DEP_1)
	v_mad_u64_u32 v[8:9], null, s14, s2, v[7:8]
	v_mov_b32_e32 v9, 0
	s_mov_b32 s14, s22
	s_mov_b32 s2, exec_lo
	v_cmpx_gt_i64_e64 s[14:15], v[8:9]
	s_cbranch_execz .LBB1_33
; %bb.9:
	v_and_b32_e32 v0, 0x3ff, v0
	s_and_b32 s2, s8, 0xffff
	s_ashr_i32 s35, s23, 31
	s_mov_b32 s34, s23
	s_delay_alu instid0(VALU_DEP_1) | instskip(SKIP_1) | instid1(VALU_DEP_1)
	v_mad_u64_u32 v[10:11], null, s13, s2, v[0:1]
	v_mov_b32_e32 v11, v9
	v_cmp_gt_i64_e32 vcc_lo, s[34:35], v[10:11]
	s_and_b32 exec_lo, exec_lo, vcc_lo
	s_cbranch_execz .LBB1_33
; %bb.10:
	s_ashr_i32 s13, s21, 31
	v_cmp_gt_i32_e64 s2, s16, v6
	v_cmp_gt_i64_e32 vcc_lo, s[12:13], v[4:5]
	v_cmp_gt_i32_e64 s3, s20, v3
	s_delay_alu instid0(VALU_DEP_3)
	s_and_b32 s2, s2, vcc_lo
	s_delay_alu instid0(VALU_DEP_1) | instid1(SALU_CYCLE_1)
	s_and_b32 s2, s2, s3
	s_delay_alu instid0(SALU_CYCLE_1)
	s_and_b32 exec_lo, exec_lo, s2
	s_cbranch_execz .LBB1_33
; %bb.11:
	s_max_u32 s2, s5, 1
	v_mul_lo_u32 v0, v4, s27
	v_cvt_f32_u32_e32 v7, s2
	s_max_u32 s22, s7, 1
	s_max_u32 s3, s6, 1
	v_cvt_f32_u32_e32 v13, s22
	v_mul_lo_u32 v19, v8, s28
	v_rcp_iflag_f32_e32 v7, v7
	v_cvt_f32_u32_e32 v12, s3
	v_subrev_nc_u32_e32 v21, s30, v0
	v_rcp_iflag_f32_e32 v13, v13
	v_mul_lo_u32 v18, v10, s29
	s_sub_i32 s8, 0, s2
	v_rcp_iflag_f32_e32 v12, v12
	v_subrev_nc_u32_e32 v20, s31, v19
	v_max_i32_e32 v14, 0, v21
	s_sub_i32 s9, 0, s3
	v_mul_f32_e32 v7, 0x4f7ffffe, v7
	s_sub_i32 s10, 0, s22
	v_subrev_nc_u32_e32 v22, s4, v18
	v_max_i32_e32 v15, 0, v20
	v_dual_mul_f32 v13, 0x4f7ffffe, v13 :: v_dual_add_nc_u32 v14, s30, v14
	s_delay_alu instid0(TRANS32_DEP_1)
	v_mul_f32_e32 v12, 0x4f7ffffe, v12
	v_cvt_u32_f32_e32 v7, v7
	v_max_i32_e32 v16, 0, v22
	v_add_nc_u32_e32 v15, s31, v15
	v_cmp_ne_u32_e32 vcc_lo, v14, v0
	v_cvt_u32_f32_e32 v12, v12
	v_mul_lo_u32 v17, s8, v7
	v_cvt_u32_f32_e32 v29, v13
	v_add_nc_u32_e32 v16, s4, v16
	v_cndmask_b32_e64 v23, 0, 1, vcc_lo
	v_cmp_ne_u32_e32 vcc_lo, v15, v19
	v_mul_lo_u32 v13, s9, v12
	v_mul_lo_u32 v27, s10, v29
	s_load_b128 s[8:11], s[0:1], 0x0
	v_mul_hi_u32 v17, v7, v17
	v_cndmask_b32_e64 v24, 0, 1, vcc_lo
	v_cmp_ne_u32_e32 vcc_lo, v16, v18
	v_add_nc_u32_e32 v26, v0, v23
	s_mov_b32 s23, 0
	v_mul_hi_u32 v28, v12, v13
	v_mul_hi_u32 v30, v29, v27
	v_cndmask_b32_e64 v25, 0, 1, vcc_lo
	v_sub_nc_u32_e32 v26, v14, v26
	v_add_nc_u32_e32 v7, v7, v17
	v_add_nc_u32_e32 v17, v19, v24
	s_and_not1_b32 vcc_lo, exec_lo, s36
	v_add_nc_u32_e32 v31, v18, v25
	s_delay_alu instid0(VALU_DEP_3) | instskip(NEXT) | instid1(VALU_DEP_3)
	v_mad_u64_u32 v[13:14], null, v26, v7, 0
	v_sub_nc_u32_e32 v27, v15, v17
	v_add_nc_u32_e32 v7, v12, v28
	s_delay_alu instid0(VALU_DEP_4) | instskip(SKIP_1) | instid1(VALU_DEP_3)
	v_sub_nc_u32_e32 v28, v16, v31
	v_add_nc_u32_e32 v12, v29, v30
	v_mad_u64_u32 v[16:17], null, v27, v7, 0
	s_delay_alu instid0(VALU_DEP_2)
	v_mad_u64_u32 v[15:16], null, v28, v12, 0
	s_cbranch_vccnz .LBB1_14
; %bb.12:
	s_ashr_i32 s20, s19, 31
	s_mul_i32 s21, s18, s17
	s_mul_hi_i32 s28, s18, s17
	s_mul_i32 s20, s21, s20
	s_mul_hi_u32 s27, s21, s19
	s_mul_i32 s28, s28, s19
	s_add_i32 s20, s27, s20
	s_mul_i32 s21, s21, s19
	s_add_i32 s20, s20, s28
	v_mul_lo_u32 v7, s21, v2
	v_mad_u64_u32 v[12:13], null, s21, v1, 0
	v_mul_lo_u32 v15, s20, v1
	s_delay_alu instid0(VALU_DEP_1) | instskip(NEXT) | instid1(VALU_DEP_1)
	v_add3_u32 v13, v13, v7, v15
	v_lshlrev_b64 v[12:13], 2, v[12:13]
	s_waitcnt lgkmcnt(0)
	s_delay_alu instid0(VALU_DEP_1) | instskip(NEXT) | instid1(VALU_DEP_2)
	v_add_co_u32 v12, vcc_lo, s8, v12
	v_add_co_ci_u32_e32 v13, vcc_lo, s9, v13, vcc_lo
	s_load_b64 s[20:21], s[0:1], 0x10
	v_ashrrev_i32_e32 v7, 31, v6
	s_and_not1_b32 vcc_lo, exec_lo, s23
	s_cbranch_vccz .LBB1_15
	s_branch .LBB1_16
.LBB1_13:
                                        ; implicit-def: $vgpr3_vgpr4
	s_branch .LBB1_6
.LBB1_14:
                                        ; implicit-def: $vgpr12_vgpr13
	s_load_b64 s[20:21], s[0:1], 0x10
	v_ashrrev_i32_e32 v7, 31, v6
.LBB1_15:
	s_ashr_i32 s0, s18, 31
	s_mul_i32 s1, s17, s16
	s_mul_hi_i32 s28, s17, s16
	s_mul_i32 s0, s1, s0
	s_mul_hi_u32 s27, s1, s18
	s_ashr_i32 s23, s19, 31
	s_add_i32 s0, s27, s0
	s_mul_i32 s1, s1, s18
	s_mul_i32 s28, s28, s18
	;; [unrolled: 1-line block ×3, first 2 shown]
	s_mul_hi_u32 s27, s1, s19
	s_add_i32 s0, s0, s28
	v_ashrrev_i32_e32 v12, 31, v3
	s_add_i32 s23, s27, s23
	s_mul_i32 s0, s0, s19
	s_mul_i32 s1, s1, s19
	s_add_i32 s23, s23, s0
	v_mul_lo_u32 v29, s1, v12
	v_mul_lo_u32 v15, s23, v3
	v_mad_u64_u32 v[12:13], null, s1, v3, 0
	s_delay_alu instid0(VALU_DEP_1) | instskip(SKIP_1) | instid1(VALU_DEP_2)
	v_add3_u32 v13, v13, v29, v15
	v_lshlrev_b64 v[29:30], 2, v[6:7]
	v_lshlrev_b64 v[12:13], 2, v[12:13]
	s_waitcnt lgkmcnt(0)
	s_delay_alu instid0(VALU_DEP_1) | instskip(NEXT) | instid1(VALU_DEP_2)
	v_add_co_u32 v12, vcc_lo, s8, v12
	v_add_co_ci_u32_e32 v13, vcc_lo, s9, v13, vcc_lo
	s_delay_alu instid0(VALU_DEP_2) | instskip(NEXT) | instid1(VALU_DEP_2)
	v_add_co_u32 v12, vcc_lo, v12, v29
	v_add_co_ci_u32_e32 v13, vcc_lo, v13, v30, vcc_lo
.LBB1_16:
	v_mul_lo_u32 v15, v14, s2
	v_mul_lo_u32 v29, v17, s3
	;; [unrolled: 1-line block ×3, first 2 shown]
	v_add_nc_u32_e32 v31, 1, v14
	s_waitcnt lgkmcnt(0)
	s_mov_b32 s8, exec_lo
	s_delay_alu instid0(VALU_DEP_4) | instskip(NEXT) | instid1(VALU_DEP_4)
	v_sub_nc_u32_e32 v15, v26, v15
	v_sub_nc_u32_e32 v27, v27, v29
	s_delay_alu instid0(VALU_DEP_4) | instskip(SKIP_1) | instid1(VALU_DEP_4)
	v_sub_nc_u32_e32 v28, v28, v30
	v_add_nc_u32_e32 v26, 1, v17
	v_cmp_le_u32_e32 vcc_lo, s2, v15
	v_subrev_nc_u32_e32 v29, s2, v15
	v_add_nc_u32_e32 v32, 1, v16
	v_cmp_le_u32_e64 s0, s3, v27
	v_cmp_le_u32_e64 s1, s22, v28
	v_subrev_nc_u32_e32 v30, s22, v28
	v_cndmask_b32_e32 v15, v15, v29, vcc_lo
	s_delay_alu instid0(VALU_DEP_4)
	v_cndmask_b32_e64 v17, v17, v26, s0
	v_cndmask_b32_e32 v14, v14, v31, vcc_lo
	v_subrev_nc_u32_e32 v26, s3, v27
	v_cndmask_b32_e64 v16, v16, v32, s1
	v_cmp_le_u32_e32 vcc_lo, s2, v15
	v_cndmask_b32_e64 v15, v28, v30, s1
	s_delay_alu instid0(VALU_DEP_4) | instskip(SKIP_4) | instid1(SALU_CYCLE_1)
	v_cndmask_b32_e64 v26, v27, v26, s0
	v_add_nc_u32_e32 v27, 1, v17
	v_add_nc_u32_e32 v28, 1, v16
	;; [unrolled: 1-line block ×3, first 2 shown]
	s_add_i32 s0, s24, -1
	s_mul_i32 s0, s0, s5
	s_delay_alu instid0(VALU_DEP_1) | instskip(SKIP_2) | instid1(VALU_DEP_3)
	v_cndmask_b32_e32 v14, v14, v29, vcc_lo
	v_cmp_le_u32_e32 vcc_lo, s3, v26
	v_add3_u32 v21, s0, 1, v21
	v_add_nc_u32_e32 v23, v14, v23
	v_cndmask_b32_e32 v17, v17, v27, vcc_lo
	v_cmp_le_u32_e32 vcc_lo, s22, v15
	s_delay_alu instid0(VALU_DEP_3) | instskip(SKIP_1) | instid1(VALU_DEP_4)
	v_mad_u64_u32 v[14:15], null, v23, s5, v[0:1]
	v_cndmask_b32_e32 v16, v16, v28, vcc_lo
	v_add_nc_u32_e32 v17, v17, v24
	s_delay_alu instid0(VALU_DEP_2) | instskip(NEXT) | instid1(VALU_DEP_2)
	v_add_nc_u32_e32 v0, v16, v25
	v_mul_lo_u32 v17, v17, s6
	v_subrev_nc_u32_e32 v23, s30, v14
	s_delay_alu instid0(VALU_DEP_3) | instskip(NEXT) | instid1(VALU_DEP_2)
	v_mul_lo_u32 v16, v0, s7
	v_mul_lo_u32 v26, v23, s18
	s_delay_alu instid0(VALU_DEP_4) | instskip(NEXT) | instid1(VALU_DEP_3)
	v_add_nc_u32_e32 v0, v17, v19
	v_add_nc_u32_e32 v14, v16, v18
	s_delay_alu instid0(VALU_DEP_2) | instskip(NEXT) | instid1(VALU_DEP_2)
	v_subrev_nc_u32_e32 v24, s31, v0
	v_subrev_nc_u32_e32 v0, s4, v14
	s_delay_alu instid0(VALU_DEP_2) | instskip(NEXT) | instid1(VALU_DEP_1)
	v_add_nc_u32_e32 v25, v24, v26
	v_mad_u64_u32 v[14:15], null, v25, s19, v[0:1]
	v_min_i32_e32 v25, s17, v21
	v_mov_b32_e32 v21, 0xff800000
	s_delay_alu instid0(VALU_DEP_3) | instskip(NEXT) | instid1(VALU_DEP_3)
	v_ashrrev_i32_e32 v15, 31, v14
	v_cmpx_lt_i32_e64 v23, v25
	s_cbranch_execz .LBB1_28
; %bb.17:
	v_add3_u32 v17, v26, v19, v17
	s_add_i32 s0, s25, -1
	s_add_i32 s1, s26, -1
	s_mul_i32 s0, s0, s6
	s_mul_i32 s1, s1, s7
	v_subrev_nc_u32_e32 v17, s31, v17
	v_add3_u32 v19, s0, 1, v20
	v_add3_u32 v20, s1, 1, v22
	s_and_b32 s0, exec_lo, s33
	s_mul_i32 s2, s5, s19
	v_mul_lo_u32 v17, s19, v17
	s_mul_i32 s9, s6, s19
	v_min_i32_e32 v22, s18, v19
	v_min_i32_e32 v26, s19, v20
	s_cselect_b32 s19, s16, 1
	v_mov_b32_e32 v21, 0xff800000
	s_ashr_i32 s22, s7, 31
	v_cmp_lt_i32_e32 vcc_lo, v24, v22
	v_add3_u32 v16, v17, v18, v16
	v_cmp_lt_i32_e64 s0, v0, v26
	s_mov_b32 s24, s7
	s_mov_b32 s23, 0
	s_delay_alu instid0(VALU_DEP_2) | instskip(SKIP_3) | instid1(VALU_DEP_1)
	v_subrev_nc_u32_e32 v27, s4, v16
	s_mul_i32 s4, s2, s18
	s_mul_i32 s18, s9, s19
	;; [unrolled: 1-line block ×3, first 2 shown]
	v_mul_lo_u32 v28, s19, v27
	s_mul_i32 s19, s19, s7
	s_branch .LBB1_20
.LBB1_18:                               ;   in Loop: Header=BB1_20 Depth=1
	s_or_b32 exec_lo, exec_lo, s26
.LBB1_19:                               ;   in Loop: Header=BB1_20 Depth=1
	s_delay_alu instid0(SALU_CYCLE_1) | instskip(SKIP_1) | instid1(VALU_DEP_2)
	s_or_b32 exec_lo, exec_lo, s25
	v_add_nc_u32_e32 v23, s5, v23
	v_add_nc_u32_e32 v28, s17, v28
	;; [unrolled: 1-line block ×3, first 2 shown]
	s_delay_alu instid0(VALU_DEP_3) | instskip(NEXT) | instid1(VALU_DEP_1)
	v_cmp_ge_i32_e64 s1, v23, v25
	s_or_b32 s23, s1, s23
	s_delay_alu instid0(SALU_CYCLE_1)
	s_and_not1_b32 exec_lo, exec_lo, s23
	s_cbranch_execz .LBB1_27
.LBB1_20:                               ; =>This Loop Header: Depth=1
                                        ;     Child Loop BB1_23 Depth 2
                                        ;       Child Loop BB1_25 Depth 3
	s_and_saveexec_b32 s25, vcc_lo
	s_cbranch_execz .LBB1_19
; %bb.21:                               ;   in Loop: Header=BB1_20 Depth=1
	s_delay_alu instid0(VALU_DEP_1)
	v_dual_mov_b32 v16, v27 :: v_dual_mov_b32 v29, v28
	v_mov_b32_e32 v30, v24
	s_mov_b32 s26, 0
	s_branch .LBB1_23
.LBB1_22:                               ;   in Loop: Header=BB1_23 Depth=2
	s_or_b32 exec_lo, exec_lo, s27
	v_add_nc_u32_e32 v30, s6, v30
	v_add_nc_u32_e32 v29, s18, v29
	;; [unrolled: 1-line block ×3, first 2 shown]
	s_delay_alu instid0(VALU_DEP_3) | instskip(NEXT) | instid1(VALU_DEP_1)
	v_cmp_ge_i32_e64 s1, v30, v22
	s_or_b32 s26, s1, s26
	s_delay_alu instid0(SALU_CYCLE_1)
	s_and_not1_b32 exec_lo, exec_lo, s26
	s_cbranch_execz .LBB1_18
.LBB1_23:                               ;   Parent Loop BB1_20 Depth=1
                                        ; =>  This Loop Header: Depth=2
                                        ;       Child Loop BB1_25 Depth 3
	s_delay_alu instid0(VALU_DEP_2)
	v_ashrrev_i32_e32 v17, 31, v16
	s_and_saveexec_b32 s27, s0
	s_cbranch_execz .LBB1_22
; %bb.24:                               ;   in Loop: Header=BB1_23 Depth=2
	s_delay_alu instid0(VALU_DEP_1)
	v_dual_mov_b32 v18, v17 :: v_dual_mov_b32 v31, v0
	v_mov_b32_e32 v17, v16
	v_mov_b32_e32 v19, v29
	s_mov_b32 s28, 0
	.p2align	6
.LBB1_25:                               ;   Parent Loop BB1_20 Depth=1
                                        ;     Parent Loop BB1_23 Depth=2
                                        ; =>    This Inner Loop Header: Depth=3
	s_delay_alu instid0(VALU_DEP_1) | instskip(SKIP_1) | instid1(VALU_DEP_2)
	v_ashrrev_i32_e32 v20, 31, v19
	v_add_nc_u32_e32 v31, s7, v31
	v_lshlrev_b64 v[32:33], 2, v[19:20]
	v_add_nc_u32_e32 v19, s19, v19
	s_delay_alu instid0(VALU_DEP_2) | instskip(NEXT) | instid1(VALU_DEP_1)
	v_add_co_u32 v32, s1, v12, v32
	v_add_co_ci_u32_e64 v33, s1, v13, v33, s1
	v_cmp_ge_i32_e64 s1, v31, v26
	global_load_b32 v20, v[32:33], off
	s_waitcnt vmcnt(0)
	v_cmp_lt_f32_e64 s2, v21, v20
	v_cmp_u_f32_e64 s3, v20, v20
	s_delay_alu instid0(VALU_DEP_1)
	s_or_b32 s2, s2, s3
	s_or_b32 s28, s1, s28
	v_cndmask_b32_e64 v15, v15, v18, s2
	v_cndmask_b32_e64 v14, v14, v17, s2
	;; [unrolled: 1-line block ×3, first 2 shown]
	v_add_co_u32 v17, s2, v17, s24
	s_delay_alu instid0(VALU_DEP_1)
	v_add_co_ci_u32_e64 v18, s2, s22, v18, s2
	s_and_not1_b32 exec_lo, exec_lo, s28
	s_cbranch_execnz .LBB1_25
; %bb.26:                               ;   in Loop: Header=BB1_23 Depth=2
	s_or_b32 exec_lo, exec_lo, s28
	s_branch .LBB1_22
.LBB1_27:
	s_or_b32 exec_lo, exec_lo, s23
.LBB1_28:
	s_delay_alu instid0(SALU_CYCLE_1) | instskip(NEXT) | instid1(SALU_CYCLE_1)
	s_or_b32 exec_lo, exec_lo, s8
	s_and_b32 vcc_lo, exec_lo, s36
	s_cbranch_vccz .LBB1_30
; %bb.29:
	v_mad_u64_u32 v[12:13], null, v1, s12, v[4:5]
	v_mul_lo_u32 v0, v1, s13
	v_mul_lo_u32 v1, v2, s12
	s_delay_alu instid0(VALU_DEP_3) | instskip(NEXT) | instid1(VALU_DEP_2)
	v_mad_u64_u32 v[16:17], null, v12, s14, v[8:9]
	v_add3_u32 v0, v1, v13, v0
	v_mul_lo_u32 v1, v12, s15
	s_delay_alu instid0(VALU_DEP_2) | instskip(NEXT) | instid1(VALU_DEP_4)
	v_mul_lo_u32 v0, v0, s14
	v_mul_lo_u32 v2, v16, s35
	s_delay_alu instid0(VALU_DEP_2) | instskip(NEXT) | instid1(VALU_DEP_1)
	v_add3_u32 v0, v0, v17, v1
	v_mul_lo_u32 v12, v0, s34
	v_mad_u64_u32 v[0:1], null, v16, s34, v[10:11]
	s_delay_alu instid0(VALU_DEP_1)
	v_add3_u32 v1, v12, v1, v2
	s_cbranch_execz .LBB1_31
	s_branch .LBB1_32
.LBB1_30:
                                        ; implicit-def: $vgpr0_vgpr1
.LBB1_31:
	v_mad_i64_i32 v[0:1], null, v3, s12, v[4:5]
	s_ashr_i32 s0, s16, 31
	s_delay_alu instid0(VALU_DEP_1) | instskip(NEXT) | instid1(VALU_DEP_2)
	v_mul_lo_u32 v3, v0, s15
	v_mul_lo_u32 v4, v1, s14
	v_mad_u64_u32 v[1:2], null, v0, s14, v[8:9]
	s_delay_alu instid0(VALU_DEP_1) | instskip(NEXT) | instid1(VALU_DEP_2)
	v_add3_u32 v0, v4, v2, v3
	v_mul_lo_u32 v4, v1, s35
	v_mad_u64_u32 v[2:3], null, v1, s34, v[10:11]
	s_delay_alu instid0(VALU_DEP_3) | instskip(NEXT) | instid1(VALU_DEP_1)
	v_mul_lo_u32 v0, v0, s34
	v_add3_u32 v0, v0, v3, v4
	s_delay_alu instid0(VALU_DEP_3) | instskip(NEXT) | instid1(VALU_DEP_2)
	v_mul_lo_u32 v3, v2, s0
	v_mul_lo_u32 v4, v0, s16
	v_mad_u64_u32 v[0:1], null, v2, s16, v[6:7]
	s_delay_alu instid0(VALU_DEP_1)
	v_add3_u32 v1, v4, v1, v3
.LBB1_32:
	s_delay_alu instid0(VALU_DEP_1) | instskip(SKIP_1) | instid1(VALU_DEP_2)
	v_lshlrev_b64 v[2:3], 2, v[0:1]
	v_lshlrev_b64 v[0:1], 3, v[0:1]
	v_add_co_u32 v2, vcc_lo, s10, v2
	s_delay_alu instid0(VALU_DEP_3) | instskip(NEXT) | instid1(VALU_DEP_3)
	v_add_co_ci_u32_e32 v3, vcc_lo, s11, v3, vcc_lo
	v_add_co_u32 v0, vcc_lo, s20, v0
	s_delay_alu instid0(VALU_DEP_4)
	v_add_co_ci_u32_e32 v1, vcc_lo, s21, v1, vcc_lo
	global_store_b32 v[2:3], v21, off
	global_store_b64 v[0:1], v[14:15], off
.LBB1_33:
	s_nop 0
	s_sendmsg sendmsg(MSG_DEALLOC_VGPRS)
	s_endpgm
	.section	.rodata,"a",@progbits
	.p2align	6, 0x0
	.amdhsa_kernel _ZN2at6native12_GLOBAL__N_140max_pool3d_with_indices_single_out_frameIfEEvPKT_PS3_Pliiiiiiiiiiiiiiiiiiiiib
		.amdhsa_group_segment_fixed_size 0
		.amdhsa_private_segment_fixed_size 0
		.amdhsa_kernarg_size 368
		.amdhsa_user_sgpr_count 13
		.amdhsa_user_sgpr_dispatch_ptr 0
		.amdhsa_user_sgpr_queue_ptr 0
		.amdhsa_user_sgpr_kernarg_segment_ptr 1
		.amdhsa_user_sgpr_dispatch_id 0
		.amdhsa_user_sgpr_private_segment_size 0
		.amdhsa_wavefront_size32 1
		.amdhsa_uses_dynamic_stack 0
		.amdhsa_enable_private_segment 0
		.amdhsa_system_sgpr_workgroup_id_x 1
		.amdhsa_system_sgpr_workgroup_id_y 1
		.amdhsa_system_sgpr_workgroup_id_z 1
		.amdhsa_system_sgpr_workgroup_info 0
		.amdhsa_system_vgpr_workitem_id 2
		.amdhsa_next_free_vgpr 34
		.amdhsa_next_free_sgpr 38
		.amdhsa_reserve_vcc 1
		.amdhsa_float_round_mode_32 0
		.amdhsa_float_round_mode_16_64 0
		.amdhsa_float_denorm_mode_32 3
		.amdhsa_float_denorm_mode_16_64 3
		.amdhsa_dx10_clamp 1
		.amdhsa_ieee_mode 1
		.amdhsa_fp16_overflow 0
		.amdhsa_workgroup_processor_mode 1
		.amdhsa_memory_ordered 1
		.amdhsa_forward_progress 0
		.amdhsa_shared_vgpr_count 0
		.amdhsa_exception_fp_ieee_invalid_op 0
		.amdhsa_exception_fp_denorm_src 0
		.amdhsa_exception_fp_ieee_div_zero 0
		.amdhsa_exception_fp_ieee_overflow 0
		.amdhsa_exception_fp_ieee_underflow 0
		.amdhsa_exception_fp_ieee_inexact 0
		.amdhsa_exception_int_div_zero 0
	.end_amdhsa_kernel
	.section	.text._ZN2at6native12_GLOBAL__N_140max_pool3d_with_indices_single_out_frameIfEEvPKT_PS3_Pliiiiiiiiiiiiiiiiiiiiib,"axG",@progbits,_ZN2at6native12_GLOBAL__N_140max_pool3d_with_indices_single_out_frameIfEEvPKT_PS3_Pliiiiiiiiiiiiiiiiiiiiib,comdat
.Lfunc_end1:
	.size	_ZN2at6native12_GLOBAL__N_140max_pool3d_with_indices_single_out_frameIfEEvPKT_PS3_Pliiiiiiiiiiiiiiiiiiiiib, .Lfunc_end1-_ZN2at6native12_GLOBAL__N_140max_pool3d_with_indices_single_out_frameIfEEvPKT_PS3_Pliiiiiiiiiiiiiiiiiiiiib
                                        ; -- End function
	.section	.AMDGPU.csdata,"",@progbits
; Kernel info:
; codeLenInByte = 3364
; NumSgprs: 40
; NumVgprs: 34
; ScratchSize: 0
; MemoryBound: 0
; FloatMode: 240
; IeeeMode: 1
; LDSByteSize: 0 bytes/workgroup (compile time only)
; SGPRBlocks: 4
; VGPRBlocks: 4
; NumSGPRsForWavesPerEU: 40
; NumVGPRsForWavesPerEU: 34
; Occupancy: 16
; WaveLimiterHint : 0
; COMPUTE_PGM_RSRC2:SCRATCH_EN: 0
; COMPUTE_PGM_RSRC2:USER_SGPR: 13
; COMPUTE_PGM_RSRC2:TRAP_HANDLER: 0
; COMPUTE_PGM_RSRC2:TGID_X_EN: 1
; COMPUTE_PGM_RSRC2:TGID_Y_EN: 1
; COMPUTE_PGM_RSRC2:TGID_Z_EN: 1
; COMPUTE_PGM_RSRC2:TIDIG_COMP_CNT: 2
	.section	.text._ZN2at6native12_GLOBAL__N_140max_pool3d_with_indices_single_out_frameIN3c104HalfEEEvPKT_PS5_Pliiiiiiiiiiiiiiiiiiiiib,"axG",@progbits,_ZN2at6native12_GLOBAL__N_140max_pool3d_with_indices_single_out_frameIN3c104HalfEEEvPKT_PS5_Pliiiiiiiiiiiiiiiiiiiiib,comdat
	.globl	_ZN2at6native12_GLOBAL__N_140max_pool3d_with_indices_single_out_frameIN3c104HalfEEEvPKT_PS5_Pliiiiiiiiiiiiiiiiiiiiib ; -- Begin function _ZN2at6native12_GLOBAL__N_140max_pool3d_with_indices_single_out_frameIN3c104HalfEEEvPKT_PS5_Pliiiiiiiiiiiiiiiiiiiiib
	.p2align	8
	.type	_ZN2at6native12_GLOBAL__N_140max_pool3d_with_indices_single_out_frameIN3c104HalfEEEvPKT_PS5_Pliiiiiiiiiiiiiiiiiiiiib,@function
_ZN2at6native12_GLOBAL__N_140max_pool3d_with_indices_single_out_frameIN3c104HalfEEEvPKT_PS5_Pliiiiiiiiiiiiiiiiiiiiib: ; @_ZN2at6native12_GLOBAL__N_140max_pool3d_with_indices_single_out_frameIN3c104HalfEEEvPKT_PS5_Pliiiiiiiiiiiiiiiiiiiiib
; %bb.0:
	s_clause 0x3
	s_load_b64 s[2:3], s[0:1], 0x68
	s_load_b64 s[8:9], s[0:1], 0x7c
	s_load_b512 s[16:31], s[0:1], 0x18
	s_load_b128 s[4:7], s[0:1], 0x58
	v_bfe_u32 v1, v0, 20, 10
	s_waitcnt lgkmcnt(0)
	s_bitcmp1_b32 s3, 0
	s_cselect_b32 s33, -1, 0
	s_and_b32 s3, s9, 0xffff
	s_mov_b32 s12, s21
	s_mul_i32 s15, s15, s3
	s_and_b32 vcc_lo, exec_lo, s33
	v_add3_u32 v7, s15, s2, v1
	s_mov_b32 s2, -1
	s_cbranch_vccnz .LBB2_2
; %bb.1:
	v_cvt_f32_u32_e32 v1, s21
	s_sub_i32 s2, 0, s21
	v_mov_b32_e32 v5, 0
	s_delay_alu instid0(VALU_DEP_2) | instskip(SKIP_2) | instid1(VALU_DEP_1)
	v_rcp_iflag_f32_e32 v1, v1
	s_waitcnt_depctr 0xfff
	v_mul_f32_e32 v1, 0x4f7ffffe, v1
	v_cvt_u32_f32_e32 v1, v1
	s_delay_alu instid0(VALU_DEP_1) | instskip(SKIP_1) | instid1(VALU_DEP_1)
	v_mul_lo_u32 v2, s2, v1
	s_mov_b32 s2, 0
	v_mul_hi_u32 v2, v1, v2
	s_delay_alu instid0(VALU_DEP_1) | instskip(NEXT) | instid1(VALU_DEP_1)
	v_add_nc_u32_e32 v1, v1, v2
	v_mul_hi_u32 v1, v7, v1
	s_delay_alu instid0(VALU_DEP_1) | instskip(SKIP_1) | instid1(VALU_DEP_2)
	v_mul_lo_u32 v2, v1, s21
	v_add_nc_u32_e32 v3, 1, v1
	v_sub_nc_u32_e32 v2, v7, v2
	s_delay_alu instid0(VALU_DEP_1) | instskip(SKIP_1) | instid1(VALU_DEP_2)
	v_subrev_nc_u32_e32 v4, s21, v2
	v_cmp_le_u32_e32 vcc_lo, s21, v2
	v_dual_cndmask_b32 v1, v1, v3 :: v_dual_cndmask_b32 v2, v2, v4
	s_delay_alu instid0(VALU_DEP_1) | instskip(NEXT) | instid1(VALU_DEP_2)
	v_add_nc_u32_e32 v3, 1, v1
	v_cmp_le_u32_e32 vcc_lo, s21, v2
	s_delay_alu instid0(VALU_DEP_2) | instskip(NEXT) | instid1(VALU_DEP_1)
	v_cndmask_b32_e32 v1, v1, v3, vcc_lo
	v_mul_lo_u32 v2, v1, s21
	s_delay_alu instid0(VALU_DEP_1)
	v_sub_nc_u32_e32 v4, v7, v2
	v_mov_b32_e32 v2, v5
	s_branch .LBB2_3
.LBB2_2:
                                        ; implicit-def: $vgpr4_vgpr5
                                        ; implicit-def: $vgpr1_vgpr2
.LBB2_3:
	v_cndmask_b32_e64 v6, 0, 1, s2
	v_mov_b32_e32 v3, s2
	s_delay_alu instid0(VALU_DEP_2)
	v_cmp_ne_u32_e32 vcc_lo, 1, v6
	v_mov_b32_e32 v6, s2
	s_cbranch_vccnz .LBB2_8
; %bb.4:
	v_cvt_f32_u32_e32 v1, s16
	s_sub_i32 s2, 0, s16
	s_ashr_i32 s3, s21, 31
	s_mov_b32 s10, 0
	s_mov_b32 s11, s3
	v_rcp_iflag_f32_e32 v1, v1
	s_cmp_lg_u64 s[10:11], 0
	s_waitcnt_depctr 0xfff
	v_mul_f32_e32 v1, 0x4f7ffffe, v1
	s_delay_alu instid0(VALU_DEP_1) | instskip(NEXT) | instid1(VALU_DEP_1)
	v_cvt_u32_f32_e32 v1, v1
	v_mul_lo_u32 v2, s2, v1
	s_delay_alu instid0(VALU_DEP_1) | instskip(NEXT) | instid1(VALU_DEP_1)
	v_mul_hi_u32 v2, v1, v2
	v_add_nc_u32_e32 v1, v1, v2
	s_delay_alu instid0(VALU_DEP_1) | instskip(NEXT) | instid1(VALU_DEP_1)
	v_mul_hi_u32 v1, v7, v1
	v_mul_lo_u32 v2, v1, s16
	v_add_nc_u32_e32 v3, 1, v1
	s_delay_alu instid0(VALU_DEP_2) | instskip(NEXT) | instid1(VALU_DEP_1)
	v_sub_nc_u32_e32 v2, v7, v2
	v_subrev_nc_u32_e32 v4, s16, v2
	v_cmp_le_u32_e32 vcc_lo, s16, v2
	s_delay_alu instid0(VALU_DEP_4) | instskip(NEXT) | instid1(VALU_DEP_3)
	v_cndmask_b32_e32 v1, v1, v3, vcc_lo
	v_dual_cndmask_b32 v3, v2, v4 :: v_dual_mov_b32 v2, 0
	s_delay_alu instid0(VALU_DEP_2) | instskip(NEXT) | instid1(VALU_DEP_2)
	v_add_nc_u32_e32 v4, 1, v1
	v_cmp_le_u32_e32 vcc_lo, s16, v3
	s_delay_alu instid0(VALU_DEP_2)
	v_cndmask_b32_e32 v1, v1, v4, vcc_lo
	s_cbranch_scc0 .LBB2_13
; %bb.5:
	s_add_u32 s36, s12, s3
	s_mov_b32 s34, s3
	s_mov_b32 s35, s3
	s_addc_u32 s37, s3, s3
	s_delay_alu instid0(SALU_CYCLE_1) | instskip(NEXT) | instid1(SALU_CYCLE_1)
	s_xor_b64 s[36:37], s[36:37], s[34:35]
	v_cvt_f32_u32_e32 v3, s36
	v_cvt_f32_u32_e32 v4, s37
	s_sub_u32 s2, 0, s36
	s_subb_u32 s9, 0, s37
	s_delay_alu instid0(VALU_DEP_1) | instskip(NEXT) | instid1(VALU_DEP_1)
	v_fmamk_f32 v3, v4, 0x4f800000, v3
	v_rcp_f32_e32 v3, v3
	s_waitcnt_depctr 0xfff
	v_mul_f32_e32 v3, 0x5f7ffffc, v3
	s_delay_alu instid0(VALU_DEP_1) | instskip(NEXT) | instid1(VALU_DEP_1)
	v_mul_f32_e32 v4, 0x2f800000, v3
	v_trunc_f32_e32 v4, v4
	s_delay_alu instid0(VALU_DEP_1) | instskip(SKIP_1) | instid1(VALU_DEP_2)
	v_fmamk_f32 v3, v4, 0xcf800000, v3
	v_cvt_u32_f32_e32 v4, v4
	v_cvt_u32_f32_e32 v3, v3
	s_delay_alu instid0(VALU_DEP_2) | instskip(NEXT) | instid1(VALU_DEP_2)
	v_mul_lo_u32 v5, s2, v4
	v_mul_hi_u32 v6, s2, v3
	v_mul_lo_u32 v8, s9, v3
	s_delay_alu instid0(VALU_DEP_2) | instskip(SKIP_1) | instid1(VALU_DEP_2)
	v_add_nc_u32_e32 v5, v6, v5
	v_mul_lo_u32 v6, s2, v3
	v_add_nc_u32_e32 v5, v5, v8
	s_delay_alu instid0(VALU_DEP_2) | instskip(NEXT) | instid1(VALU_DEP_2)
	v_mul_hi_u32 v8, v3, v6
	v_mul_lo_u32 v9, v3, v5
	v_mul_hi_u32 v10, v3, v5
	v_mul_hi_u32 v11, v4, v6
	v_mul_lo_u32 v6, v4, v6
	v_mul_hi_u32 v12, v4, v5
	v_mul_lo_u32 v5, v4, v5
	v_add_co_u32 v8, vcc_lo, v8, v9
	v_add_co_ci_u32_e32 v9, vcc_lo, 0, v10, vcc_lo
	s_delay_alu instid0(VALU_DEP_2) | instskip(NEXT) | instid1(VALU_DEP_2)
	v_add_co_u32 v6, vcc_lo, v8, v6
	v_add_co_ci_u32_e32 v6, vcc_lo, v9, v11, vcc_lo
	v_add_co_ci_u32_e32 v8, vcc_lo, 0, v12, vcc_lo
	s_delay_alu instid0(VALU_DEP_2) | instskip(NEXT) | instid1(VALU_DEP_2)
	v_add_co_u32 v5, vcc_lo, v6, v5
	v_add_co_ci_u32_e32 v6, vcc_lo, 0, v8, vcc_lo
	s_delay_alu instid0(VALU_DEP_2) | instskip(NEXT) | instid1(VALU_DEP_2)
	v_add_co_u32 v3, vcc_lo, v3, v5
	v_add_co_ci_u32_e32 v4, vcc_lo, v4, v6, vcc_lo
	s_delay_alu instid0(VALU_DEP_2) | instskip(SKIP_1) | instid1(VALU_DEP_3)
	v_mul_hi_u32 v5, s2, v3
	v_mul_lo_u32 v8, s9, v3
	v_mul_lo_u32 v6, s2, v4
	s_delay_alu instid0(VALU_DEP_1) | instskip(SKIP_1) | instid1(VALU_DEP_2)
	v_add_nc_u32_e32 v5, v5, v6
	v_mul_lo_u32 v6, s2, v3
	v_add_nc_u32_e32 v5, v5, v8
	s_delay_alu instid0(VALU_DEP_2) | instskip(NEXT) | instid1(VALU_DEP_2)
	v_mul_hi_u32 v8, v3, v6
	v_mul_lo_u32 v9, v3, v5
	v_mul_hi_u32 v10, v3, v5
	v_mul_hi_u32 v11, v4, v6
	v_mul_lo_u32 v6, v4, v6
	v_mul_hi_u32 v12, v4, v5
	v_mul_lo_u32 v5, v4, v5
	v_add_co_u32 v8, vcc_lo, v8, v9
	v_add_co_ci_u32_e32 v9, vcc_lo, 0, v10, vcc_lo
	s_delay_alu instid0(VALU_DEP_2) | instskip(NEXT) | instid1(VALU_DEP_2)
	v_add_co_u32 v6, vcc_lo, v8, v6
	v_add_co_ci_u32_e32 v6, vcc_lo, v9, v11, vcc_lo
	v_add_co_ci_u32_e32 v8, vcc_lo, 0, v12, vcc_lo
	s_delay_alu instid0(VALU_DEP_2) | instskip(NEXT) | instid1(VALU_DEP_2)
	v_add_co_u32 v5, vcc_lo, v6, v5
	v_add_co_ci_u32_e32 v6, vcc_lo, 0, v8, vcc_lo
	s_delay_alu instid0(VALU_DEP_2) | instskip(NEXT) | instid1(VALU_DEP_2)
	v_add_co_u32 v8, vcc_lo, v3, v5
	v_add_co_ci_u32_e32 v10, vcc_lo, v4, v6, vcc_lo
	s_delay_alu instid0(VALU_DEP_2) | instskip(SKIP_1) | instid1(VALU_DEP_3)
	v_mul_hi_u32 v11, v1, v8
	v_mad_u64_u32 v[5:6], null, 0, v8, 0
	v_mad_u64_u32 v[3:4], null, v1, v10, 0
	;; [unrolled: 1-line block ×3, first 2 shown]
	s_delay_alu instid0(VALU_DEP_2) | instskip(NEXT) | instid1(VALU_DEP_3)
	v_add_co_u32 v3, vcc_lo, v11, v3
	v_add_co_ci_u32_e32 v4, vcc_lo, 0, v4, vcc_lo
	s_delay_alu instid0(VALU_DEP_2) | instskip(NEXT) | instid1(VALU_DEP_2)
	v_add_co_u32 v3, vcc_lo, v3, v5
	v_add_co_ci_u32_e32 v3, vcc_lo, v4, v6, vcc_lo
	v_add_co_ci_u32_e32 v4, vcc_lo, 0, v9, vcc_lo
	s_delay_alu instid0(VALU_DEP_2) | instskip(NEXT) | instid1(VALU_DEP_2)
	v_add_co_u32 v5, vcc_lo, v3, v8
	v_add_co_ci_u32_e32 v6, vcc_lo, 0, v4, vcc_lo
	s_delay_alu instid0(VALU_DEP_2) | instskip(SKIP_1) | instid1(VALU_DEP_3)
	v_mul_lo_u32 v8, s37, v5
	v_mad_u64_u32 v[3:4], null, s36, v5, 0
	v_mul_lo_u32 v9, s36, v6
	s_delay_alu instid0(VALU_DEP_2) | instskip(NEXT) | instid1(VALU_DEP_2)
	v_sub_co_u32 v3, vcc_lo, v1, v3
	v_add3_u32 v4, v4, v9, v8
	s_delay_alu instid0(VALU_DEP_1) | instskip(NEXT) | instid1(VALU_DEP_1)
	v_sub_nc_u32_e32 v8, 0, v4
	v_subrev_co_ci_u32_e64 v8, s2, s37, v8, vcc_lo
	v_add_co_u32 v9, s2, v5, 2
	s_delay_alu instid0(VALU_DEP_1) | instskip(SKIP_3) | instid1(VALU_DEP_3)
	v_add_co_ci_u32_e64 v10, s2, 0, v6, s2
	v_sub_co_u32 v11, s2, v3, s36
	v_sub_co_ci_u32_e32 v4, vcc_lo, 0, v4, vcc_lo
	v_subrev_co_ci_u32_e64 v8, s2, 0, v8, s2
	v_cmp_le_u32_e32 vcc_lo, s36, v11
	s_delay_alu instid0(VALU_DEP_3) | instskip(SKIP_1) | instid1(VALU_DEP_4)
	v_cmp_eq_u32_e64 s2, s37, v4
	v_cndmask_b32_e64 v11, 0, -1, vcc_lo
	v_cmp_le_u32_e32 vcc_lo, s37, v8
	v_cndmask_b32_e64 v12, 0, -1, vcc_lo
	v_cmp_le_u32_e32 vcc_lo, s36, v3
	;; [unrolled: 2-line block ×3, first 2 shown]
	v_cndmask_b32_e64 v13, 0, -1, vcc_lo
	v_cmp_eq_u32_e32 vcc_lo, s37, v8
	s_delay_alu instid0(VALU_DEP_2) | instskip(SKIP_3) | instid1(VALU_DEP_3)
	v_cndmask_b32_e64 v3, v13, v3, s2
	v_cndmask_b32_e32 v8, v12, v11, vcc_lo
	v_add_co_u32 v11, vcc_lo, v5, 1
	v_add_co_ci_u32_e32 v12, vcc_lo, 0, v6, vcc_lo
	v_cmp_ne_u32_e32 vcc_lo, 0, v8
	s_delay_alu instid0(VALU_DEP_2) | instskip(NEXT) | instid1(VALU_DEP_4)
	v_cndmask_b32_e32 v4, v12, v10, vcc_lo
	v_cndmask_b32_e32 v8, v11, v9, vcc_lo
	v_cmp_ne_u32_e32 vcc_lo, 0, v3
	s_delay_alu instid0(VALU_DEP_3) | instskip(NEXT) | instid1(VALU_DEP_3)
	v_cndmask_b32_e32 v3, v6, v4, vcc_lo
	v_cndmask_b32_e32 v4, v5, v8, vcc_lo
	s_delay_alu instid0(VALU_DEP_2) | instskip(NEXT) | instid1(VALU_DEP_2)
	v_xor_b32_e32 v5, s35, v3
	v_xor_b32_e32 v4, s34, v4
	s_delay_alu instid0(VALU_DEP_1) | instskip(NEXT) | instid1(VALU_DEP_3)
	v_sub_co_u32 v3, vcc_lo, v4, s34
	v_subrev_co_ci_u32_e32 v4, vcc_lo, s35, v5, vcc_lo
	s_and_not1_b32 vcc_lo, exec_lo, s10
	s_cbranch_vccnz .LBB2_7
.LBB2_6:
	v_cvt_f32_u32_e32 v3, s12
	s_sub_i32 s2, 0, s12
	s_delay_alu instid0(VALU_DEP_1) | instskip(SKIP_2) | instid1(VALU_DEP_1)
	v_rcp_iflag_f32_e32 v3, v3
	s_waitcnt_depctr 0xfff
	v_mul_f32_e32 v3, 0x4f7ffffe, v3
	v_cvt_u32_f32_e32 v3, v3
	s_delay_alu instid0(VALU_DEP_1) | instskip(NEXT) | instid1(VALU_DEP_1)
	v_mul_lo_u32 v4, s2, v3
	v_mul_hi_u32 v4, v3, v4
	s_delay_alu instid0(VALU_DEP_1) | instskip(NEXT) | instid1(VALU_DEP_1)
	v_add_nc_u32_e32 v3, v3, v4
	v_mul_hi_u32 v3, v1, v3
	s_delay_alu instid0(VALU_DEP_1) | instskip(SKIP_1) | instid1(VALU_DEP_2)
	v_mul_lo_u32 v4, v3, s12
	v_add_nc_u32_e32 v5, 1, v3
	v_sub_nc_u32_e32 v4, v1, v4
	s_delay_alu instid0(VALU_DEP_1) | instskip(SKIP_1) | instid1(VALU_DEP_2)
	v_subrev_nc_u32_e32 v6, s12, v4
	v_cmp_le_u32_e32 vcc_lo, s12, v4
	v_dual_cndmask_b32 v4, v4, v6 :: v_dual_cndmask_b32 v3, v3, v5
	s_delay_alu instid0(VALU_DEP_1) | instskip(NEXT) | instid1(VALU_DEP_2)
	v_cmp_le_u32_e32 vcc_lo, s12, v4
	v_dual_mov_b32 v4, 0 :: v_dual_add_nc_u32 v5, 1, v3
	s_delay_alu instid0(VALU_DEP_1)
	v_cndmask_b32_e32 v3, v3, v5, vcc_lo
.LBB2_7:
	s_delay_alu instid0(VALU_DEP_1) | instskip(NEXT) | instid1(VALU_DEP_2)
	v_mul_lo_u32 v6, v4, s12
	v_mul_lo_u32 v8, v3, s3
	v_mad_u64_u32 v[4:5], null, v3, s12, 0
	v_mul_lo_u32 v9, v1, s16
	s_delay_alu instid0(VALU_DEP_2) | instskip(NEXT) | instid1(VALU_DEP_3)
	v_add3_u32 v5, v5, v8, v6
	v_sub_co_u32 v4, vcc_lo, v1, v4
	s_delay_alu instid0(VALU_DEP_3) | instskip(NEXT) | instid1(VALU_DEP_3)
	v_sub_nc_u32_e32 v6, v7, v9
	v_sub_co_ci_u32_e32 v5, vcc_lo, 0, v5, vcc_lo
.LBB2_8:
	v_bfe_u32 v7, v0, 10, 10
	s_lshr_b32 s2, s8, 16
	s_xor_b32 s36, s33, -1
	s_ashr_i32 s15, s22, 31
	s_delay_alu instid0(VALU_DEP_1) | instskip(SKIP_3) | instid1(VALU_DEP_1)
	v_mad_u64_u32 v[8:9], null, s14, s2, v[7:8]
	v_mov_b32_e32 v9, 0
	s_mov_b32 s14, s22
	s_mov_b32 s2, exec_lo
	v_cmpx_gt_i64_e64 s[14:15], v[8:9]
	s_cbranch_execz .LBB2_33
; %bb.9:
	v_and_b32_e32 v0, 0x3ff, v0
	s_and_b32 s2, s8, 0xffff
	s_ashr_i32 s35, s23, 31
	s_mov_b32 s34, s23
	s_delay_alu instid0(VALU_DEP_1) | instskip(SKIP_1) | instid1(VALU_DEP_1)
	v_mad_u64_u32 v[10:11], null, s13, s2, v[0:1]
	v_mov_b32_e32 v11, v9
	v_cmp_gt_i64_e32 vcc_lo, s[34:35], v[10:11]
	s_and_b32 exec_lo, exec_lo, vcc_lo
	s_cbranch_execz .LBB2_33
; %bb.10:
	s_ashr_i32 s13, s21, 31
	v_cmp_gt_i32_e64 s2, s16, v6
	v_cmp_gt_i64_e32 vcc_lo, s[12:13], v[4:5]
	v_cmp_gt_i32_e64 s3, s20, v3
	s_delay_alu instid0(VALU_DEP_3)
	s_and_b32 s2, s2, vcc_lo
	s_delay_alu instid0(VALU_DEP_1) | instid1(SALU_CYCLE_1)
	s_and_b32 s2, s2, s3
	s_delay_alu instid0(SALU_CYCLE_1)
	s_and_b32 exec_lo, exec_lo, s2
	s_cbranch_execz .LBB2_33
; %bb.11:
	s_max_u32 s2, s5, 1
	v_mul_lo_u32 v0, v4, s27
	v_cvt_f32_u32_e32 v7, s2
	s_max_u32 s22, s7, 1
	s_max_u32 s3, s6, 1
	v_cvt_f32_u32_e32 v13, s22
	v_mul_lo_u32 v19, v8, s28
	v_rcp_iflag_f32_e32 v7, v7
	v_cvt_f32_u32_e32 v12, s3
	v_subrev_nc_u32_e32 v21, s30, v0
	v_rcp_iflag_f32_e32 v13, v13
	v_mul_lo_u32 v18, v10, s29
	s_sub_i32 s8, 0, s2
	v_rcp_iflag_f32_e32 v12, v12
	v_subrev_nc_u32_e32 v20, s31, v19
	v_max_i32_e32 v14, 0, v21
	s_sub_i32 s9, 0, s3
	v_mul_f32_e32 v7, 0x4f7ffffe, v7
	s_sub_i32 s10, 0, s22
	v_subrev_nc_u32_e32 v22, s4, v18
	v_max_i32_e32 v15, 0, v20
	v_dual_mul_f32 v13, 0x4f7ffffe, v13 :: v_dual_add_nc_u32 v14, s30, v14
	s_delay_alu instid0(TRANS32_DEP_1)
	v_mul_f32_e32 v12, 0x4f7ffffe, v12
	v_cvt_u32_f32_e32 v7, v7
	v_max_i32_e32 v16, 0, v22
	v_add_nc_u32_e32 v15, s31, v15
	v_cmp_ne_u32_e32 vcc_lo, v14, v0
	v_cvt_u32_f32_e32 v12, v12
	v_mul_lo_u32 v17, s8, v7
	v_cvt_u32_f32_e32 v29, v13
	v_add_nc_u32_e32 v16, s4, v16
	v_cndmask_b32_e64 v23, 0, 1, vcc_lo
	v_cmp_ne_u32_e32 vcc_lo, v15, v19
	v_mul_lo_u32 v13, s9, v12
	v_mul_lo_u32 v27, s10, v29
	s_load_b128 s[8:11], s[0:1], 0x0
	v_mul_hi_u32 v17, v7, v17
	v_cndmask_b32_e64 v24, 0, 1, vcc_lo
	v_cmp_ne_u32_e32 vcc_lo, v16, v18
	v_add_nc_u32_e32 v26, v0, v23
	s_mov_b32 s23, 0
	v_mul_hi_u32 v28, v12, v13
	v_mul_hi_u32 v30, v29, v27
	v_cndmask_b32_e64 v25, 0, 1, vcc_lo
	v_sub_nc_u32_e32 v26, v14, v26
	v_add_nc_u32_e32 v7, v7, v17
	v_add_nc_u32_e32 v17, v19, v24
	s_and_not1_b32 vcc_lo, exec_lo, s36
	v_add_nc_u32_e32 v31, v18, v25
	s_delay_alu instid0(VALU_DEP_3) | instskip(NEXT) | instid1(VALU_DEP_3)
	v_mad_u64_u32 v[13:14], null, v26, v7, 0
	v_sub_nc_u32_e32 v27, v15, v17
	v_add_nc_u32_e32 v7, v12, v28
	s_delay_alu instid0(VALU_DEP_4) | instskip(SKIP_1) | instid1(VALU_DEP_3)
	v_sub_nc_u32_e32 v28, v16, v31
	v_add_nc_u32_e32 v12, v29, v30
	v_mad_u64_u32 v[16:17], null, v27, v7, 0
	s_delay_alu instid0(VALU_DEP_2)
	v_mad_u64_u32 v[15:16], null, v28, v12, 0
	s_cbranch_vccnz .LBB2_14
; %bb.12:
	s_ashr_i32 s20, s19, 31
	s_mul_i32 s21, s18, s17
	s_mul_hi_i32 s28, s18, s17
	s_mul_i32 s20, s21, s20
	s_mul_hi_u32 s27, s21, s19
	s_mul_i32 s28, s28, s19
	s_add_i32 s20, s27, s20
	s_mul_i32 s21, s21, s19
	s_add_i32 s20, s20, s28
	v_mul_lo_u32 v7, s21, v2
	v_mad_u64_u32 v[12:13], null, s21, v1, 0
	v_mul_lo_u32 v15, s20, v1
	s_delay_alu instid0(VALU_DEP_1) | instskip(NEXT) | instid1(VALU_DEP_1)
	v_add3_u32 v13, v13, v7, v15
	v_lshlrev_b64 v[12:13], 1, v[12:13]
	s_waitcnt lgkmcnt(0)
	s_delay_alu instid0(VALU_DEP_1) | instskip(NEXT) | instid1(VALU_DEP_2)
	v_add_co_u32 v12, vcc_lo, s8, v12
	v_add_co_ci_u32_e32 v13, vcc_lo, s9, v13, vcc_lo
	s_load_b64 s[20:21], s[0:1], 0x10
	v_ashrrev_i32_e32 v7, 31, v6
	s_and_not1_b32 vcc_lo, exec_lo, s23
	s_cbranch_vccz .LBB2_15
	s_branch .LBB2_16
.LBB2_13:
                                        ; implicit-def: $vgpr3_vgpr4
	s_branch .LBB2_6
.LBB2_14:
                                        ; implicit-def: $vgpr12_vgpr13
	s_load_b64 s[20:21], s[0:1], 0x10
	v_ashrrev_i32_e32 v7, 31, v6
.LBB2_15:
	s_ashr_i32 s0, s18, 31
	s_mul_i32 s1, s17, s16
	s_mul_hi_i32 s28, s17, s16
	s_mul_i32 s0, s1, s0
	s_mul_hi_u32 s27, s1, s18
	s_ashr_i32 s23, s19, 31
	s_add_i32 s0, s27, s0
	s_mul_i32 s1, s1, s18
	s_mul_i32 s28, s28, s18
	;; [unrolled: 1-line block ×3, first 2 shown]
	s_mul_hi_u32 s27, s1, s19
	s_add_i32 s0, s0, s28
	v_ashrrev_i32_e32 v12, 31, v3
	s_add_i32 s23, s27, s23
	s_mul_i32 s0, s0, s19
	s_mul_i32 s1, s1, s19
	s_add_i32 s23, s23, s0
	v_mul_lo_u32 v29, s1, v12
	v_mul_lo_u32 v15, s23, v3
	v_mad_u64_u32 v[12:13], null, s1, v3, 0
	s_delay_alu instid0(VALU_DEP_1) | instskip(SKIP_1) | instid1(VALU_DEP_2)
	v_add3_u32 v13, v13, v29, v15
	v_lshlrev_b64 v[29:30], 1, v[6:7]
	v_lshlrev_b64 v[12:13], 1, v[12:13]
	s_waitcnt lgkmcnt(0)
	s_delay_alu instid0(VALU_DEP_1) | instskip(NEXT) | instid1(VALU_DEP_2)
	v_add_co_u32 v12, vcc_lo, s8, v12
	v_add_co_ci_u32_e32 v13, vcc_lo, s9, v13, vcc_lo
	s_delay_alu instid0(VALU_DEP_2) | instskip(NEXT) | instid1(VALU_DEP_2)
	v_add_co_u32 v12, vcc_lo, v12, v29
	v_add_co_ci_u32_e32 v13, vcc_lo, v13, v30, vcc_lo
.LBB2_16:
	v_mul_lo_u32 v15, v14, s2
	v_mul_lo_u32 v29, v17, s3
	;; [unrolled: 1-line block ×3, first 2 shown]
	v_add_nc_u32_e32 v31, 1, v14
	s_waitcnt lgkmcnt(0)
	s_mov_b32 s8, exec_lo
	s_delay_alu instid0(VALU_DEP_4) | instskip(NEXT) | instid1(VALU_DEP_4)
	v_sub_nc_u32_e32 v15, v26, v15
	v_sub_nc_u32_e32 v27, v27, v29
	s_delay_alu instid0(VALU_DEP_4) | instskip(SKIP_1) | instid1(VALU_DEP_4)
	v_sub_nc_u32_e32 v28, v28, v30
	v_add_nc_u32_e32 v26, 1, v17
	v_cmp_le_u32_e32 vcc_lo, s2, v15
	v_subrev_nc_u32_e32 v29, s2, v15
	v_add_nc_u32_e32 v32, 1, v16
	v_cmp_le_u32_e64 s0, s3, v27
	v_cmp_le_u32_e64 s1, s22, v28
	v_subrev_nc_u32_e32 v30, s22, v28
	v_cndmask_b32_e32 v15, v15, v29, vcc_lo
	s_delay_alu instid0(VALU_DEP_4)
	v_cndmask_b32_e64 v17, v17, v26, s0
	v_cndmask_b32_e32 v14, v14, v31, vcc_lo
	v_subrev_nc_u32_e32 v26, s3, v27
	v_cndmask_b32_e64 v16, v16, v32, s1
	v_cmp_le_u32_e32 vcc_lo, s2, v15
	v_cndmask_b32_e64 v15, v28, v30, s1
	s_delay_alu instid0(VALU_DEP_4) | instskip(SKIP_4) | instid1(SALU_CYCLE_1)
	v_cndmask_b32_e64 v26, v27, v26, s0
	v_add_nc_u32_e32 v27, 1, v17
	v_add_nc_u32_e32 v28, 1, v16
	;; [unrolled: 1-line block ×3, first 2 shown]
	s_add_i32 s0, s24, -1
	s_mul_i32 s0, s0, s5
	s_delay_alu instid0(VALU_DEP_1) | instskip(SKIP_2) | instid1(VALU_DEP_3)
	v_cndmask_b32_e32 v14, v14, v29, vcc_lo
	v_cmp_le_u32_e32 vcc_lo, s3, v26
	v_add3_u32 v21, s0, 1, v21
	v_add_nc_u32_e32 v23, v14, v23
	v_cndmask_b32_e32 v17, v17, v27, vcc_lo
	v_cmp_le_u32_e32 vcc_lo, s22, v15
	s_delay_alu instid0(VALU_DEP_3) | instskip(SKIP_1) | instid1(VALU_DEP_4)
	v_mad_u64_u32 v[14:15], null, v23, s5, v[0:1]
	v_cndmask_b32_e32 v16, v16, v28, vcc_lo
	v_add_nc_u32_e32 v17, v17, v24
	s_delay_alu instid0(VALU_DEP_2) | instskip(NEXT) | instid1(VALU_DEP_2)
	v_add_nc_u32_e32 v0, v16, v25
	v_mul_lo_u32 v17, v17, s6
	v_subrev_nc_u32_e32 v23, s30, v14
	s_delay_alu instid0(VALU_DEP_3) | instskip(NEXT) | instid1(VALU_DEP_2)
	v_mul_lo_u32 v16, v0, s7
	v_mul_lo_u32 v26, v23, s18
	s_delay_alu instid0(VALU_DEP_4) | instskip(NEXT) | instid1(VALU_DEP_3)
	v_add_nc_u32_e32 v0, v17, v19
	v_add_nc_u32_e32 v14, v16, v18
	s_delay_alu instid0(VALU_DEP_2) | instskip(NEXT) | instid1(VALU_DEP_2)
	v_subrev_nc_u32_e32 v24, s31, v0
	v_subrev_nc_u32_e32 v0, s4, v14
	s_delay_alu instid0(VALU_DEP_2) | instskip(NEXT) | instid1(VALU_DEP_1)
	v_add_nc_u32_e32 v25, v24, v26
	v_mad_u64_u32 v[14:15], null, v25, s19, v[0:1]
	v_min_i32_e32 v25, s17, v21
	v_mov_b32_e32 v21, 0xfffffc00
	s_delay_alu instid0(VALU_DEP_3) | instskip(NEXT) | instid1(VALU_DEP_3)
	v_ashrrev_i32_e32 v15, 31, v14
	v_cmpx_lt_i32_e64 v23, v25
	s_cbranch_execz .LBB2_28
; %bb.17:
	v_add3_u32 v17, v26, v19, v17
	s_add_i32 s0, s25, -1
	s_add_i32 s1, s26, -1
	s_mul_i32 s0, s0, s6
	s_mul_i32 s1, s1, s7
	v_subrev_nc_u32_e32 v17, s31, v17
	v_add3_u32 v19, s0, 1, v20
	v_add3_u32 v20, s1, 1, v22
	s_and_b32 s0, exec_lo, s33
	s_mul_i32 s2, s5, s19
	v_mul_lo_u32 v17, s19, v17
	s_mul_i32 s9, s6, s19
	v_min_i32_e32 v22, s18, v19
	v_min_i32_e32 v26, s19, v20
	s_cselect_b32 s19, s16, 1
	v_mov_b32_e32 v21, 0xfffffc00
	s_ashr_i32 s22, s7, 31
	v_cmp_lt_i32_e32 vcc_lo, v24, v22
	v_add3_u32 v16, v17, v18, v16
	v_cmp_lt_i32_e64 s0, v0, v26
	s_mov_b32 s24, s7
	s_mov_b32 s23, 0
	s_delay_alu instid0(VALU_DEP_2) | instskip(SKIP_3) | instid1(VALU_DEP_1)
	v_subrev_nc_u32_e32 v27, s4, v16
	s_mul_i32 s4, s2, s18
	s_mul_i32 s18, s9, s19
	;; [unrolled: 1-line block ×3, first 2 shown]
	v_mul_lo_u32 v28, s19, v27
	s_mul_i32 s19, s19, s7
	s_branch .LBB2_20
.LBB2_18:                               ;   in Loop: Header=BB2_20 Depth=1
	s_or_b32 exec_lo, exec_lo, s26
.LBB2_19:                               ;   in Loop: Header=BB2_20 Depth=1
	s_delay_alu instid0(SALU_CYCLE_1) | instskip(SKIP_1) | instid1(VALU_DEP_2)
	s_or_b32 exec_lo, exec_lo, s25
	v_add_nc_u32_e32 v23, s5, v23
	v_add_nc_u32_e32 v28, s17, v28
	;; [unrolled: 1-line block ×3, first 2 shown]
	s_delay_alu instid0(VALU_DEP_3) | instskip(NEXT) | instid1(VALU_DEP_1)
	v_cmp_ge_i32_e64 s1, v23, v25
	s_or_b32 s23, s1, s23
	s_delay_alu instid0(SALU_CYCLE_1)
	s_and_not1_b32 exec_lo, exec_lo, s23
	s_cbranch_execz .LBB2_27
.LBB2_20:                               ; =>This Loop Header: Depth=1
                                        ;     Child Loop BB2_23 Depth 2
                                        ;       Child Loop BB2_25 Depth 3
	s_and_saveexec_b32 s25, vcc_lo
	s_cbranch_execz .LBB2_19
; %bb.21:                               ;   in Loop: Header=BB2_20 Depth=1
	s_delay_alu instid0(VALU_DEP_1)
	v_dual_mov_b32 v16, v27 :: v_dual_mov_b32 v29, v28
	v_mov_b32_e32 v30, v24
	s_mov_b32 s26, 0
	s_branch .LBB2_23
.LBB2_22:                               ;   in Loop: Header=BB2_23 Depth=2
	s_or_b32 exec_lo, exec_lo, s27
	v_add_nc_u32_e32 v30, s6, v30
	v_add_nc_u32_e32 v29, s18, v29
	;; [unrolled: 1-line block ×3, first 2 shown]
	s_delay_alu instid0(VALU_DEP_3) | instskip(NEXT) | instid1(VALU_DEP_1)
	v_cmp_ge_i32_e64 s1, v30, v22
	s_or_b32 s26, s1, s26
	s_delay_alu instid0(SALU_CYCLE_1)
	s_and_not1_b32 exec_lo, exec_lo, s26
	s_cbranch_execz .LBB2_18
.LBB2_23:                               ;   Parent Loop BB2_20 Depth=1
                                        ; =>  This Loop Header: Depth=2
                                        ;       Child Loop BB2_25 Depth 3
	s_delay_alu instid0(VALU_DEP_2)
	v_ashrrev_i32_e32 v17, 31, v16
	s_and_saveexec_b32 s27, s0
	s_cbranch_execz .LBB2_22
; %bb.24:                               ;   in Loop: Header=BB2_23 Depth=2
	s_delay_alu instid0(VALU_DEP_1)
	v_dual_mov_b32 v18, v17 :: v_dual_mov_b32 v31, v0
	v_mov_b32_e32 v17, v16
	v_mov_b32_e32 v19, v29
	s_mov_b32 s28, 0
	.p2align	6
.LBB2_25:                               ;   Parent Loop BB2_20 Depth=1
                                        ;     Parent Loop BB2_23 Depth=2
                                        ; =>    This Inner Loop Header: Depth=3
	s_delay_alu instid0(VALU_DEP_1) | instskip(SKIP_1) | instid1(VALU_DEP_2)
	v_ashrrev_i32_e32 v20, 31, v19
	v_add_nc_u32_e32 v31, s7, v31
	v_lshlrev_b64 v[32:33], 1, v[19:20]
	v_add_nc_u32_e32 v19, s19, v19
	s_delay_alu instid0(VALU_DEP_2) | instskip(NEXT) | instid1(VALU_DEP_1)
	v_add_co_u32 v32, s1, v12, v32
	v_add_co_ci_u32_e64 v33, s1, v13, v33, s1
	v_cmp_ge_i32_e64 s1, v31, v26
	global_load_u16 v20, v[32:33], off
	s_waitcnt vmcnt(0)
	v_cmp_lt_f16_e64 s2, v21, v20
	v_cmp_u_f16_e64 s3, v20, v20
	s_delay_alu instid0(VALU_DEP_1)
	s_or_b32 s2, s2, s3
	s_or_b32 s28, s1, s28
	v_cndmask_b32_e64 v21, v21, v20, s2
	v_cndmask_b32_e64 v15, v15, v18, s2
	;; [unrolled: 1-line block ×3, first 2 shown]
	v_add_co_u32 v17, s2, v17, s24
	s_delay_alu instid0(VALU_DEP_1)
	v_add_co_ci_u32_e64 v18, s2, s22, v18, s2
	s_and_not1_b32 exec_lo, exec_lo, s28
	s_cbranch_execnz .LBB2_25
; %bb.26:                               ;   in Loop: Header=BB2_23 Depth=2
	s_or_b32 exec_lo, exec_lo, s28
	s_branch .LBB2_22
.LBB2_27:
	s_or_b32 exec_lo, exec_lo, s23
.LBB2_28:
	s_delay_alu instid0(SALU_CYCLE_1) | instskip(NEXT) | instid1(SALU_CYCLE_1)
	s_or_b32 exec_lo, exec_lo, s8
	s_and_b32 vcc_lo, exec_lo, s36
	s_cbranch_vccz .LBB2_30
; %bb.29:
	v_mad_u64_u32 v[12:13], null, v1, s12, v[4:5]
	v_mul_lo_u32 v0, v1, s13
	v_mul_lo_u32 v1, v2, s12
	s_delay_alu instid0(VALU_DEP_3) | instskip(NEXT) | instid1(VALU_DEP_2)
	v_mad_u64_u32 v[16:17], null, v12, s14, v[8:9]
	v_add3_u32 v0, v1, v13, v0
	v_mul_lo_u32 v1, v12, s15
	s_delay_alu instid0(VALU_DEP_2) | instskip(NEXT) | instid1(VALU_DEP_4)
	v_mul_lo_u32 v0, v0, s14
	v_mul_lo_u32 v2, v16, s35
	s_delay_alu instid0(VALU_DEP_2) | instskip(NEXT) | instid1(VALU_DEP_1)
	v_add3_u32 v0, v0, v17, v1
	v_mul_lo_u32 v12, v0, s34
	v_mad_u64_u32 v[0:1], null, v16, s34, v[10:11]
	s_delay_alu instid0(VALU_DEP_1)
	v_add3_u32 v1, v12, v1, v2
	s_cbranch_execz .LBB2_31
	s_branch .LBB2_32
.LBB2_30:
                                        ; implicit-def: $vgpr0_vgpr1
.LBB2_31:
	v_mad_i64_i32 v[0:1], null, v3, s12, v[4:5]
	s_ashr_i32 s0, s16, 31
	s_delay_alu instid0(VALU_DEP_1) | instskip(NEXT) | instid1(VALU_DEP_2)
	v_mul_lo_u32 v3, v0, s15
	v_mul_lo_u32 v4, v1, s14
	v_mad_u64_u32 v[1:2], null, v0, s14, v[8:9]
	s_delay_alu instid0(VALU_DEP_1) | instskip(NEXT) | instid1(VALU_DEP_2)
	v_add3_u32 v0, v4, v2, v3
	v_mul_lo_u32 v4, v1, s35
	v_mad_u64_u32 v[2:3], null, v1, s34, v[10:11]
	s_delay_alu instid0(VALU_DEP_3) | instskip(NEXT) | instid1(VALU_DEP_1)
	v_mul_lo_u32 v0, v0, s34
	v_add3_u32 v0, v0, v3, v4
	s_delay_alu instid0(VALU_DEP_3) | instskip(NEXT) | instid1(VALU_DEP_2)
	v_mul_lo_u32 v3, v2, s0
	v_mul_lo_u32 v4, v0, s16
	v_mad_u64_u32 v[0:1], null, v2, s16, v[6:7]
	s_delay_alu instid0(VALU_DEP_1)
	v_add3_u32 v1, v4, v1, v3
.LBB2_32:
	s_delay_alu instid0(VALU_DEP_1) | instskip(SKIP_1) | instid1(VALU_DEP_2)
	v_lshlrev_b64 v[2:3], 1, v[0:1]
	v_lshlrev_b64 v[0:1], 3, v[0:1]
	v_add_co_u32 v2, vcc_lo, s10, v2
	s_delay_alu instid0(VALU_DEP_3) | instskip(NEXT) | instid1(VALU_DEP_3)
	v_add_co_ci_u32_e32 v3, vcc_lo, s11, v3, vcc_lo
	v_add_co_u32 v0, vcc_lo, s20, v0
	s_delay_alu instid0(VALU_DEP_4)
	v_add_co_ci_u32_e32 v1, vcc_lo, s21, v1, vcc_lo
	global_store_b16 v[2:3], v21, off
	global_store_b64 v[0:1], v[14:15], off
.LBB2_33:
	s_nop 0
	s_sendmsg sendmsg(MSG_DEALLOC_VGPRS)
	s_endpgm
	.section	.rodata,"a",@progbits
	.p2align	6, 0x0
	.amdhsa_kernel _ZN2at6native12_GLOBAL__N_140max_pool3d_with_indices_single_out_frameIN3c104HalfEEEvPKT_PS5_Pliiiiiiiiiiiiiiiiiiiiib
		.amdhsa_group_segment_fixed_size 0
		.amdhsa_private_segment_fixed_size 0
		.amdhsa_kernarg_size 368
		.amdhsa_user_sgpr_count 13
		.amdhsa_user_sgpr_dispatch_ptr 0
		.amdhsa_user_sgpr_queue_ptr 0
		.amdhsa_user_sgpr_kernarg_segment_ptr 1
		.amdhsa_user_sgpr_dispatch_id 0
		.amdhsa_user_sgpr_private_segment_size 0
		.amdhsa_wavefront_size32 1
		.amdhsa_uses_dynamic_stack 0
		.amdhsa_enable_private_segment 0
		.amdhsa_system_sgpr_workgroup_id_x 1
		.amdhsa_system_sgpr_workgroup_id_y 1
		.amdhsa_system_sgpr_workgroup_id_z 1
		.amdhsa_system_sgpr_workgroup_info 0
		.amdhsa_system_vgpr_workitem_id 2
		.amdhsa_next_free_vgpr 34
		.amdhsa_next_free_sgpr 38
		.amdhsa_reserve_vcc 1
		.amdhsa_float_round_mode_32 0
		.amdhsa_float_round_mode_16_64 0
		.amdhsa_float_denorm_mode_32 3
		.amdhsa_float_denorm_mode_16_64 3
		.amdhsa_dx10_clamp 1
		.amdhsa_ieee_mode 1
		.amdhsa_fp16_overflow 0
		.amdhsa_workgroup_processor_mode 1
		.amdhsa_memory_ordered 1
		.amdhsa_forward_progress 0
		.amdhsa_shared_vgpr_count 0
		.amdhsa_exception_fp_ieee_invalid_op 0
		.amdhsa_exception_fp_denorm_src 0
		.amdhsa_exception_fp_ieee_div_zero 0
		.amdhsa_exception_fp_ieee_overflow 0
		.amdhsa_exception_fp_ieee_underflow 0
		.amdhsa_exception_fp_ieee_inexact 0
		.amdhsa_exception_int_div_zero 0
	.end_amdhsa_kernel
	.section	.text._ZN2at6native12_GLOBAL__N_140max_pool3d_with_indices_single_out_frameIN3c104HalfEEEvPKT_PS5_Pliiiiiiiiiiiiiiiiiiiiib,"axG",@progbits,_ZN2at6native12_GLOBAL__N_140max_pool3d_with_indices_single_out_frameIN3c104HalfEEEvPKT_PS5_Pliiiiiiiiiiiiiiiiiiiiib,comdat
.Lfunc_end2:
	.size	_ZN2at6native12_GLOBAL__N_140max_pool3d_with_indices_single_out_frameIN3c104HalfEEEvPKT_PS5_Pliiiiiiiiiiiiiiiiiiiiib, .Lfunc_end2-_ZN2at6native12_GLOBAL__N_140max_pool3d_with_indices_single_out_frameIN3c104HalfEEEvPKT_PS5_Pliiiiiiiiiiiiiiiiiiiiib
                                        ; -- End function
	.section	.AMDGPU.csdata,"",@progbits
; Kernel info:
; codeLenInByte = 3364
; NumSgprs: 40
; NumVgprs: 34
; ScratchSize: 0
; MemoryBound: 0
; FloatMode: 240
; IeeeMode: 1
; LDSByteSize: 0 bytes/workgroup (compile time only)
; SGPRBlocks: 4
; VGPRBlocks: 4
; NumSGPRsForWavesPerEU: 40
; NumVGPRsForWavesPerEU: 34
; Occupancy: 16
; WaveLimiterHint : 0
; COMPUTE_PGM_RSRC2:SCRATCH_EN: 0
; COMPUTE_PGM_RSRC2:USER_SGPR: 13
; COMPUTE_PGM_RSRC2:TRAP_HANDLER: 0
; COMPUTE_PGM_RSRC2:TGID_X_EN: 1
; COMPUTE_PGM_RSRC2:TGID_Y_EN: 1
; COMPUTE_PGM_RSRC2:TGID_Z_EN: 1
; COMPUTE_PGM_RSRC2:TIDIG_COMP_CNT: 2
	.section	.text._ZN2at6native12_GLOBAL__N_140max_pool3d_with_indices_single_out_frameIN3c108BFloat16EEEvPKT_PS5_Pliiiiiiiiiiiiiiiiiiiiib,"axG",@progbits,_ZN2at6native12_GLOBAL__N_140max_pool3d_with_indices_single_out_frameIN3c108BFloat16EEEvPKT_PS5_Pliiiiiiiiiiiiiiiiiiiiib,comdat
	.globl	_ZN2at6native12_GLOBAL__N_140max_pool3d_with_indices_single_out_frameIN3c108BFloat16EEEvPKT_PS5_Pliiiiiiiiiiiiiiiiiiiiib ; -- Begin function _ZN2at6native12_GLOBAL__N_140max_pool3d_with_indices_single_out_frameIN3c108BFloat16EEEvPKT_PS5_Pliiiiiiiiiiiiiiiiiiiiib
	.p2align	8
	.type	_ZN2at6native12_GLOBAL__N_140max_pool3d_with_indices_single_out_frameIN3c108BFloat16EEEvPKT_PS5_Pliiiiiiiiiiiiiiiiiiiiib,@function
_ZN2at6native12_GLOBAL__N_140max_pool3d_with_indices_single_out_frameIN3c108BFloat16EEEvPKT_PS5_Pliiiiiiiiiiiiiiiiiiiiib: ; @_ZN2at6native12_GLOBAL__N_140max_pool3d_with_indices_single_out_frameIN3c108BFloat16EEEvPKT_PS5_Pliiiiiiiiiiiiiiiiiiiiib
; %bb.0:
	s_clause 0x3
	s_load_b64 s[2:3], s[0:1], 0x68
	s_load_b64 s[8:9], s[0:1], 0x7c
	s_load_b512 s[16:31], s[0:1], 0x18
	s_load_b128 s[4:7], s[0:1], 0x58
	v_bfe_u32 v1, v0, 20, 10
	s_waitcnt lgkmcnt(0)
	s_bitcmp1_b32 s3, 0
	s_cselect_b32 s33, -1, 0
	s_and_b32 s3, s9, 0xffff
	s_mov_b32 s12, s21
	s_mul_i32 s15, s15, s3
	s_and_b32 vcc_lo, exec_lo, s33
	v_add3_u32 v7, s15, s2, v1
	s_mov_b32 s2, -1
	s_cbranch_vccnz .LBB3_2
; %bb.1:
	v_cvt_f32_u32_e32 v1, s21
	s_sub_i32 s2, 0, s21
	v_mov_b32_e32 v5, 0
	s_delay_alu instid0(VALU_DEP_2) | instskip(SKIP_2) | instid1(VALU_DEP_1)
	v_rcp_iflag_f32_e32 v1, v1
	s_waitcnt_depctr 0xfff
	v_mul_f32_e32 v1, 0x4f7ffffe, v1
	v_cvt_u32_f32_e32 v1, v1
	s_delay_alu instid0(VALU_DEP_1) | instskip(SKIP_1) | instid1(VALU_DEP_1)
	v_mul_lo_u32 v2, s2, v1
	s_mov_b32 s2, 0
	v_mul_hi_u32 v2, v1, v2
	s_delay_alu instid0(VALU_DEP_1) | instskip(NEXT) | instid1(VALU_DEP_1)
	v_add_nc_u32_e32 v1, v1, v2
	v_mul_hi_u32 v1, v7, v1
	s_delay_alu instid0(VALU_DEP_1) | instskip(SKIP_1) | instid1(VALU_DEP_2)
	v_mul_lo_u32 v2, v1, s21
	v_add_nc_u32_e32 v3, 1, v1
	v_sub_nc_u32_e32 v2, v7, v2
	s_delay_alu instid0(VALU_DEP_1) | instskip(SKIP_1) | instid1(VALU_DEP_2)
	v_subrev_nc_u32_e32 v4, s21, v2
	v_cmp_le_u32_e32 vcc_lo, s21, v2
	v_dual_cndmask_b32 v1, v1, v3 :: v_dual_cndmask_b32 v2, v2, v4
	s_delay_alu instid0(VALU_DEP_1) | instskip(NEXT) | instid1(VALU_DEP_2)
	v_add_nc_u32_e32 v3, 1, v1
	v_cmp_le_u32_e32 vcc_lo, s21, v2
	s_delay_alu instid0(VALU_DEP_2) | instskip(NEXT) | instid1(VALU_DEP_1)
	v_cndmask_b32_e32 v1, v1, v3, vcc_lo
	v_mul_lo_u32 v2, v1, s21
	s_delay_alu instid0(VALU_DEP_1)
	v_sub_nc_u32_e32 v4, v7, v2
	v_mov_b32_e32 v2, v5
	s_branch .LBB3_3
.LBB3_2:
                                        ; implicit-def: $vgpr4_vgpr5
                                        ; implicit-def: $vgpr1_vgpr2
.LBB3_3:
	v_cndmask_b32_e64 v6, 0, 1, s2
	v_mov_b32_e32 v3, s2
	s_delay_alu instid0(VALU_DEP_2)
	v_cmp_ne_u32_e32 vcc_lo, 1, v6
	v_mov_b32_e32 v6, s2
	s_cbranch_vccnz .LBB3_8
; %bb.4:
	v_cvt_f32_u32_e32 v1, s16
	s_sub_i32 s2, 0, s16
	s_ashr_i32 s3, s21, 31
	s_mov_b32 s10, 0
	s_mov_b32 s11, s3
	v_rcp_iflag_f32_e32 v1, v1
	s_cmp_lg_u64 s[10:11], 0
	s_waitcnt_depctr 0xfff
	v_mul_f32_e32 v1, 0x4f7ffffe, v1
	s_delay_alu instid0(VALU_DEP_1) | instskip(NEXT) | instid1(VALU_DEP_1)
	v_cvt_u32_f32_e32 v1, v1
	v_mul_lo_u32 v2, s2, v1
	s_delay_alu instid0(VALU_DEP_1) | instskip(NEXT) | instid1(VALU_DEP_1)
	v_mul_hi_u32 v2, v1, v2
	v_add_nc_u32_e32 v1, v1, v2
	s_delay_alu instid0(VALU_DEP_1) | instskip(NEXT) | instid1(VALU_DEP_1)
	v_mul_hi_u32 v1, v7, v1
	v_mul_lo_u32 v2, v1, s16
	v_add_nc_u32_e32 v3, 1, v1
	s_delay_alu instid0(VALU_DEP_2) | instskip(NEXT) | instid1(VALU_DEP_1)
	v_sub_nc_u32_e32 v2, v7, v2
	v_subrev_nc_u32_e32 v4, s16, v2
	v_cmp_le_u32_e32 vcc_lo, s16, v2
	s_delay_alu instid0(VALU_DEP_4) | instskip(NEXT) | instid1(VALU_DEP_3)
	v_cndmask_b32_e32 v1, v1, v3, vcc_lo
	v_dual_cndmask_b32 v3, v2, v4 :: v_dual_mov_b32 v2, 0
	s_delay_alu instid0(VALU_DEP_2) | instskip(NEXT) | instid1(VALU_DEP_2)
	v_add_nc_u32_e32 v4, 1, v1
	v_cmp_le_u32_e32 vcc_lo, s16, v3
	s_delay_alu instid0(VALU_DEP_2)
	v_cndmask_b32_e32 v1, v1, v4, vcc_lo
	s_cbranch_scc0 .LBB3_13
; %bb.5:
	s_add_u32 s36, s12, s3
	s_mov_b32 s34, s3
	s_mov_b32 s35, s3
	s_addc_u32 s37, s3, s3
	s_delay_alu instid0(SALU_CYCLE_1) | instskip(NEXT) | instid1(SALU_CYCLE_1)
	s_xor_b64 s[36:37], s[36:37], s[34:35]
	v_cvt_f32_u32_e32 v3, s36
	v_cvt_f32_u32_e32 v4, s37
	s_sub_u32 s2, 0, s36
	s_subb_u32 s9, 0, s37
	s_delay_alu instid0(VALU_DEP_1) | instskip(NEXT) | instid1(VALU_DEP_1)
	v_fmamk_f32 v3, v4, 0x4f800000, v3
	v_rcp_f32_e32 v3, v3
	s_waitcnt_depctr 0xfff
	v_mul_f32_e32 v3, 0x5f7ffffc, v3
	s_delay_alu instid0(VALU_DEP_1) | instskip(NEXT) | instid1(VALU_DEP_1)
	v_mul_f32_e32 v4, 0x2f800000, v3
	v_trunc_f32_e32 v4, v4
	s_delay_alu instid0(VALU_DEP_1) | instskip(SKIP_1) | instid1(VALU_DEP_2)
	v_fmamk_f32 v3, v4, 0xcf800000, v3
	v_cvt_u32_f32_e32 v4, v4
	v_cvt_u32_f32_e32 v3, v3
	s_delay_alu instid0(VALU_DEP_2) | instskip(NEXT) | instid1(VALU_DEP_2)
	v_mul_lo_u32 v5, s2, v4
	v_mul_hi_u32 v6, s2, v3
	v_mul_lo_u32 v8, s9, v3
	s_delay_alu instid0(VALU_DEP_2) | instskip(SKIP_1) | instid1(VALU_DEP_2)
	v_add_nc_u32_e32 v5, v6, v5
	v_mul_lo_u32 v6, s2, v3
	v_add_nc_u32_e32 v5, v5, v8
	s_delay_alu instid0(VALU_DEP_2) | instskip(NEXT) | instid1(VALU_DEP_2)
	v_mul_hi_u32 v8, v3, v6
	v_mul_lo_u32 v9, v3, v5
	v_mul_hi_u32 v10, v3, v5
	v_mul_hi_u32 v11, v4, v6
	v_mul_lo_u32 v6, v4, v6
	v_mul_hi_u32 v12, v4, v5
	v_mul_lo_u32 v5, v4, v5
	v_add_co_u32 v8, vcc_lo, v8, v9
	v_add_co_ci_u32_e32 v9, vcc_lo, 0, v10, vcc_lo
	s_delay_alu instid0(VALU_DEP_2) | instskip(NEXT) | instid1(VALU_DEP_2)
	v_add_co_u32 v6, vcc_lo, v8, v6
	v_add_co_ci_u32_e32 v6, vcc_lo, v9, v11, vcc_lo
	v_add_co_ci_u32_e32 v8, vcc_lo, 0, v12, vcc_lo
	s_delay_alu instid0(VALU_DEP_2) | instskip(NEXT) | instid1(VALU_DEP_2)
	v_add_co_u32 v5, vcc_lo, v6, v5
	v_add_co_ci_u32_e32 v6, vcc_lo, 0, v8, vcc_lo
	s_delay_alu instid0(VALU_DEP_2) | instskip(NEXT) | instid1(VALU_DEP_2)
	v_add_co_u32 v3, vcc_lo, v3, v5
	v_add_co_ci_u32_e32 v4, vcc_lo, v4, v6, vcc_lo
	s_delay_alu instid0(VALU_DEP_2) | instskip(SKIP_1) | instid1(VALU_DEP_3)
	v_mul_hi_u32 v5, s2, v3
	v_mul_lo_u32 v8, s9, v3
	v_mul_lo_u32 v6, s2, v4
	s_delay_alu instid0(VALU_DEP_1) | instskip(SKIP_1) | instid1(VALU_DEP_2)
	v_add_nc_u32_e32 v5, v5, v6
	v_mul_lo_u32 v6, s2, v3
	v_add_nc_u32_e32 v5, v5, v8
	s_delay_alu instid0(VALU_DEP_2) | instskip(NEXT) | instid1(VALU_DEP_2)
	v_mul_hi_u32 v8, v3, v6
	v_mul_lo_u32 v9, v3, v5
	v_mul_hi_u32 v10, v3, v5
	v_mul_hi_u32 v11, v4, v6
	v_mul_lo_u32 v6, v4, v6
	v_mul_hi_u32 v12, v4, v5
	v_mul_lo_u32 v5, v4, v5
	v_add_co_u32 v8, vcc_lo, v8, v9
	v_add_co_ci_u32_e32 v9, vcc_lo, 0, v10, vcc_lo
	s_delay_alu instid0(VALU_DEP_2) | instskip(NEXT) | instid1(VALU_DEP_2)
	v_add_co_u32 v6, vcc_lo, v8, v6
	v_add_co_ci_u32_e32 v6, vcc_lo, v9, v11, vcc_lo
	v_add_co_ci_u32_e32 v8, vcc_lo, 0, v12, vcc_lo
	s_delay_alu instid0(VALU_DEP_2) | instskip(NEXT) | instid1(VALU_DEP_2)
	v_add_co_u32 v5, vcc_lo, v6, v5
	v_add_co_ci_u32_e32 v6, vcc_lo, 0, v8, vcc_lo
	s_delay_alu instid0(VALU_DEP_2) | instskip(NEXT) | instid1(VALU_DEP_2)
	v_add_co_u32 v8, vcc_lo, v3, v5
	v_add_co_ci_u32_e32 v10, vcc_lo, v4, v6, vcc_lo
	s_delay_alu instid0(VALU_DEP_2) | instskip(SKIP_1) | instid1(VALU_DEP_3)
	v_mul_hi_u32 v11, v1, v8
	v_mad_u64_u32 v[5:6], null, 0, v8, 0
	v_mad_u64_u32 v[3:4], null, v1, v10, 0
	;; [unrolled: 1-line block ×3, first 2 shown]
	s_delay_alu instid0(VALU_DEP_2) | instskip(NEXT) | instid1(VALU_DEP_3)
	v_add_co_u32 v3, vcc_lo, v11, v3
	v_add_co_ci_u32_e32 v4, vcc_lo, 0, v4, vcc_lo
	s_delay_alu instid0(VALU_DEP_2) | instskip(NEXT) | instid1(VALU_DEP_2)
	v_add_co_u32 v3, vcc_lo, v3, v5
	v_add_co_ci_u32_e32 v3, vcc_lo, v4, v6, vcc_lo
	v_add_co_ci_u32_e32 v4, vcc_lo, 0, v9, vcc_lo
	s_delay_alu instid0(VALU_DEP_2) | instskip(NEXT) | instid1(VALU_DEP_2)
	v_add_co_u32 v5, vcc_lo, v3, v8
	v_add_co_ci_u32_e32 v6, vcc_lo, 0, v4, vcc_lo
	s_delay_alu instid0(VALU_DEP_2) | instskip(SKIP_1) | instid1(VALU_DEP_3)
	v_mul_lo_u32 v8, s37, v5
	v_mad_u64_u32 v[3:4], null, s36, v5, 0
	v_mul_lo_u32 v9, s36, v6
	s_delay_alu instid0(VALU_DEP_2) | instskip(NEXT) | instid1(VALU_DEP_2)
	v_sub_co_u32 v3, vcc_lo, v1, v3
	v_add3_u32 v4, v4, v9, v8
	s_delay_alu instid0(VALU_DEP_1) | instskip(NEXT) | instid1(VALU_DEP_1)
	v_sub_nc_u32_e32 v8, 0, v4
	v_subrev_co_ci_u32_e64 v8, s2, s37, v8, vcc_lo
	v_add_co_u32 v9, s2, v5, 2
	s_delay_alu instid0(VALU_DEP_1) | instskip(SKIP_3) | instid1(VALU_DEP_3)
	v_add_co_ci_u32_e64 v10, s2, 0, v6, s2
	v_sub_co_u32 v11, s2, v3, s36
	v_sub_co_ci_u32_e32 v4, vcc_lo, 0, v4, vcc_lo
	v_subrev_co_ci_u32_e64 v8, s2, 0, v8, s2
	v_cmp_le_u32_e32 vcc_lo, s36, v11
	s_delay_alu instid0(VALU_DEP_3) | instskip(SKIP_1) | instid1(VALU_DEP_4)
	v_cmp_eq_u32_e64 s2, s37, v4
	v_cndmask_b32_e64 v11, 0, -1, vcc_lo
	v_cmp_le_u32_e32 vcc_lo, s37, v8
	v_cndmask_b32_e64 v12, 0, -1, vcc_lo
	v_cmp_le_u32_e32 vcc_lo, s36, v3
	v_cndmask_b32_e64 v3, 0, -1, vcc_lo
	v_cmp_le_u32_e32 vcc_lo, s37, v4
	v_cndmask_b32_e64 v13, 0, -1, vcc_lo
	v_cmp_eq_u32_e32 vcc_lo, s37, v8
	s_delay_alu instid0(VALU_DEP_2) | instskip(SKIP_3) | instid1(VALU_DEP_3)
	v_cndmask_b32_e64 v3, v13, v3, s2
	v_cndmask_b32_e32 v8, v12, v11, vcc_lo
	v_add_co_u32 v11, vcc_lo, v5, 1
	v_add_co_ci_u32_e32 v12, vcc_lo, 0, v6, vcc_lo
	v_cmp_ne_u32_e32 vcc_lo, 0, v8
	s_delay_alu instid0(VALU_DEP_2) | instskip(NEXT) | instid1(VALU_DEP_4)
	v_cndmask_b32_e32 v4, v12, v10, vcc_lo
	v_cndmask_b32_e32 v8, v11, v9, vcc_lo
	v_cmp_ne_u32_e32 vcc_lo, 0, v3
	s_delay_alu instid0(VALU_DEP_3) | instskip(NEXT) | instid1(VALU_DEP_3)
	v_cndmask_b32_e32 v3, v6, v4, vcc_lo
	v_cndmask_b32_e32 v4, v5, v8, vcc_lo
	s_delay_alu instid0(VALU_DEP_2) | instskip(NEXT) | instid1(VALU_DEP_2)
	v_xor_b32_e32 v5, s35, v3
	v_xor_b32_e32 v4, s34, v4
	s_delay_alu instid0(VALU_DEP_1) | instskip(NEXT) | instid1(VALU_DEP_3)
	v_sub_co_u32 v3, vcc_lo, v4, s34
	v_subrev_co_ci_u32_e32 v4, vcc_lo, s35, v5, vcc_lo
	s_and_not1_b32 vcc_lo, exec_lo, s10
	s_cbranch_vccnz .LBB3_7
.LBB3_6:
	v_cvt_f32_u32_e32 v3, s12
	s_sub_i32 s2, 0, s12
	s_delay_alu instid0(VALU_DEP_1) | instskip(SKIP_2) | instid1(VALU_DEP_1)
	v_rcp_iflag_f32_e32 v3, v3
	s_waitcnt_depctr 0xfff
	v_mul_f32_e32 v3, 0x4f7ffffe, v3
	v_cvt_u32_f32_e32 v3, v3
	s_delay_alu instid0(VALU_DEP_1) | instskip(NEXT) | instid1(VALU_DEP_1)
	v_mul_lo_u32 v4, s2, v3
	v_mul_hi_u32 v4, v3, v4
	s_delay_alu instid0(VALU_DEP_1) | instskip(NEXT) | instid1(VALU_DEP_1)
	v_add_nc_u32_e32 v3, v3, v4
	v_mul_hi_u32 v3, v1, v3
	s_delay_alu instid0(VALU_DEP_1) | instskip(SKIP_1) | instid1(VALU_DEP_2)
	v_mul_lo_u32 v4, v3, s12
	v_add_nc_u32_e32 v5, 1, v3
	v_sub_nc_u32_e32 v4, v1, v4
	s_delay_alu instid0(VALU_DEP_1) | instskip(SKIP_1) | instid1(VALU_DEP_2)
	v_subrev_nc_u32_e32 v6, s12, v4
	v_cmp_le_u32_e32 vcc_lo, s12, v4
	v_dual_cndmask_b32 v4, v4, v6 :: v_dual_cndmask_b32 v3, v3, v5
	s_delay_alu instid0(VALU_DEP_1) | instskip(NEXT) | instid1(VALU_DEP_2)
	v_cmp_le_u32_e32 vcc_lo, s12, v4
	v_dual_mov_b32 v4, 0 :: v_dual_add_nc_u32 v5, 1, v3
	s_delay_alu instid0(VALU_DEP_1)
	v_cndmask_b32_e32 v3, v3, v5, vcc_lo
.LBB3_7:
	s_delay_alu instid0(VALU_DEP_1) | instskip(NEXT) | instid1(VALU_DEP_2)
	v_mul_lo_u32 v6, v4, s12
	v_mul_lo_u32 v8, v3, s3
	v_mad_u64_u32 v[4:5], null, v3, s12, 0
	v_mul_lo_u32 v9, v1, s16
	s_delay_alu instid0(VALU_DEP_2) | instskip(NEXT) | instid1(VALU_DEP_3)
	v_add3_u32 v5, v5, v8, v6
	v_sub_co_u32 v4, vcc_lo, v1, v4
	s_delay_alu instid0(VALU_DEP_3) | instskip(NEXT) | instid1(VALU_DEP_3)
	v_sub_nc_u32_e32 v6, v7, v9
	v_sub_co_ci_u32_e32 v5, vcc_lo, 0, v5, vcc_lo
.LBB3_8:
	v_bfe_u32 v7, v0, 10, 10
	s_lshr_b32 s2, s8, 16
	s_xor_b32 s36, s33, -1
	s_ashr_i32 s15, s22, 31
	s_delay_alu instid0(VALU_DEP_1) | instskip(SKIP_3) | instid1(VALU_DEP_1)
	v_mad_u64_u32 v[8:9], null, s14, s2, v[7:8]
	v_mov_b32_e32 v9, 0
	s_mov_b32 s14, s22
	s_mov_b32 s2, exec_lo
	v_cmpx_gt_i64_e64 s[14:15], v[8:9]
	s_cbranch_execz .LBB3_33
; %bb.9:
	v_and_b32_e32 v0, 0x3ff, v0
	s_and_b32 s2, s8, 0xffff
	s_ashr_i32 s35, s23, 31
	s_mov_b32 s34, s23
	s_delay_alu instid0(VALU_DEP_1) | instskip(SKIP_1) | instid1(VALU_DEP_1)
	v_mad_u64_u32 v[10:11], null, s13, s2, v[0:1]
	v_mov_b32_e32 v11, v9
	v_cmp_gt_i64_e32 vcc_lo, s[34:35], v[10:11]
	s_and_b32 exec_lo, exec_lo, vcc_lo
	s_cbranch_execz .LBB3_33
; %bb.10:
	s_ashr_i32 s13, s21, 31
	v_cmp_gt_i32_e64 s2, s16, v6
	v_cmp_gt_i64_e32 vcc_lo, s[12:13], v[4:5]
	v_cmp_gt_i32_e64 s3, s20, v3
	s_delay_alu instid0(VALU_DEP_3)
	s_and_b32 s2, s2, vcc_lo
	s_delay_alu instid0(VALU_DEP_1) | instid1(SALU_CYCLE_1)
	s_and_b32 s2, s2, s3
	s_delay_alu instid0(SALU_CYCLE_1)
	s_and_b32 exec_lo, exec_lo, s2
	s_cbranch_execz .LBB3_33
; %bb.11:
	s_max_u32 s2, s5, 1
	v_mul_lo_u32 v0, v4, s27
	v_cvt_f32_u32_e32 v7, s2
	s_max_u32 s22, s7, 1
	s_max_u32 s3, s6, 1
	v_cvt_f32_u32_e32 v13, s22
	v_mul_lo_u32 v19, v8, s28
	v_rcp_iflag_f32_e32 v7, v7
	v_cvt_f32_u32_e32 v12, s3
	v_subrev_nc_u32_e32 v21, s30, v0
	v_rcp_iflag_f32_e32 v13, v13
	v_mul_lo_u32 v18, v10, s29
	s_sub_i32 s8, 0, s2
	v_rcp_iflag_f32_e32 v12, v12
	v_subrev_nc_u32_e32 v20, s31, v19
	v_max_i32_e32 v14, 0, v21
	s_sub_i32 s9, 0, s3
	v_mul_f32_e32 v7, 0x4f7ffffe, v7
	s_sub_i32 s10, 0, s22
	v_subrev_nc_u32_e32 v22, s4, v18
	v_max_i32_e32 v15, 0, v20
	v_dual_mul_f32 v13, 0x4f7ffffe, v13 :: v_dual_add_nc_u32 v14, s30, v14
	s_delay_alu instid0(TRANS32_DEP_1)
	v_mul_f32_e32 v12, 0x4f7ffffe, v12
	v_cvt_u32_f32_e32 v7, v7
	v_max_i32_e32 v16, 0, v22
	v_add_nc_u32_e32 v15, s31, v15
	v_cmp_ne_u32_e32 vcc_lo, v14, v0
	v_cvt_u32_f32_e32 v12, v12
	v_mul_lo_u32 v17, s8, v7
	v_cvt_u32_f32_e32 v29, v13
	v_add_nc_u32_e32 v16, s4, v16
	v_cndmask_b32_e64 v23, 0, 1, vcc_lo
	v_cmp_ne_u32_e32 vcc_lo, v15, v19
	v_mul_lo_u32 v13, s9, v12
	v_mul_lo_u32 v27, s10, v29
	s_load_b128 s[8:11], s[0:1], 0x0
	v_mul_hi_u32 v17, v7, v17
	v_cndmask_b32_e64 v24, 0, 1, vcc_lo
	v_cmp_ne_u32_e32 vcc_lo, v16, v18
	v_add_nc_u32_e32 v26, v0, v23
	s_mov_b32 s23, 0
	v_mul_hi_u32 v28, v12, v13
	v_mul_hi_u32 v30, v29, v27
	v_cndmask_b32_e64 v25, 0, 1, vcc_lo
	v_sub_nc_u32_e32 v26, v14, v26
	v_add_nc_u32_e32 v7, v7, v17
	v_add_nc_u32_e32 v17, v19, v24
	s_and_not1_b32 vcc_lo, exec_lo, s36
	v_add_nc_u32_e32 v31, v18, v25
	s_delay_alu instid0(VALU_DEP_3) | instskip(NEXT) | instid1(VALU_DEP_3)
	v_mad_u64_u32 v[13:14], null, v26, v7, 0
	v_sub_nc_u32_e32 v27, v15, v17
	v_add_nc_u32_e32 v7, v12, v28
	s_delay_alu instid0(VALU_DEP_4) | instskip(SKIP_1) | instid1(VALU_DEP_3)
	v_sub_nc_u32_e32 v28, v16, v31
	v_add_nc_u32_e32 v12, v29, v30
	v_mad_u64_u32 v[16:17], null, v27, v7, 0
	s_delay_alu instid0(VALU_DEP_2)
	v_mad_u64_u32 v[15:16], null, v28, v12, 0
	s_cbranch_vccnz .LBB3_14
; %bb.12:
	s_ashr_i32 s20, s19, 31
	s_mul_i32 s21, s18, s17
	s_mul_hi_i32 s28, s18, s17
	s_mul_i32 s20, s21, s20
	s_mul_hi_u32 s27, s21, s19
	s_mul_i32 s28, s28, s19
	s_add_i32 s20, s27, s20
	s_mul_i32 s21, s21, s19
	s_add_i32 s20, s20, s28
	v_mul_lo_u32 v7, s21, v2
	v_mad_u64_u32 v[12:13], null, s21, v1, 0
	v_mul_lo_u32 v15, s20, v1
	s_delay_alu instid0(VALU_DEP_1) | instskip(NEXT) | instid1(VALU_DEP_1)
	v_add3_u32 v13, v13, v7, v15
	v_lshlrev_b64 v[12:13], 1, v[12:13]
	s_waitcnt lgkmcnt(0)
	s_delay_alu instid0(VALU_DEP_1) | instskip(NEXT) | instid1(VALU_DEP_2)
	v_add_co_u32 v12, vcc_lo, s8, v12
	v_add_co_ci_u32_e32 v13, vcc_lo, s9, v13, vcc_lo
	s_load_b64 s[20:21], s[0:1], 0x10
	v_ashrrev_i32_e32 v7, 31, v6
	s_and_not1_b32 vcc_lo, exec_lo, s23
	s_cbranch_vccz .LBB3_15
	s_branch .LBB3_16
.LBB3_13:
                                        ; implicit-def: $vgpr3_vgpr4
	s_branch .LBB3_6
.LBB3_14:
                                        ; implicit-def: $vgpr12_vgpr13
	s_load_b64 s[20:21], s[0:1], 0x10
	v_ashrrev_i32_e32 v7, 31, v6
.LBB3_15:
	s_ashr_i32 s0, s18, 31
	s_mul_i32 s1, s17, s16
	s_mul_hi_i32 s28, s17, s16
	s_mul_i32 s0, s1, s0
	s_mul_hi_u32 s27, s1, s18
	s_ashr_i32 s23, s19, 31
	s_add_i32 s0, s27, s0
	s_mul_i32 s1, s1, s18
	s_mul_i32 s28, s28, s18
	s_mul_i32 s23, s1, s23
	s_mul_hi_u32 s27, s1, s19
	s_add_i32 s0, s0, s28
	v_ashrrev_i32_e32 v12, 31, v3
	s_add_i32 s23, s27, s23
	s_mul_i32 s0, s0, s19
	s_mul_i32 s1, s1, s19
	s_add_i32 s23, s23, s0
	v_mul_lo_u32 v29, s1, v12
	v_mul_lo_u32 v15, s23, v3
	v_mad_u64_u32 v[12:13], null, s1, v3, 0
	s_delay_alu instid0(VALU_DEP_1) | instskip(SKIP_1) | instid1(VALU_DEP_2)
	v_add3_u32 v13, v13, v29, v15
	v_lshlrev_b64 v[29:30], 1, v[6:7]
	v_lshlrev_b64 v[12:13], 1, v[12:13]
	s_waitcnt lgkmcnt(0)
	s_delay_alu instid0(VALU_DEP_1) | instskip(NEXT) | instid1(VALU_DEP_2)
	v_add_co_u32 v12, vcc_lo, s8, v12
	v_add_co_ci_u32_e32 v13, vcc_lo, s9, v13, vcc_lo
	s_delay_alu instid0(VALU_DEP_2) | instskip(NEXT) | instid1(VALU_DEP_2)
	v_add_co_u32 v12, vcc_lo, v12, v29
	v_add_co_ci_u32_e32 v13, vcc_lo, v13, v30, vcc_lo
.LBB3_16:
	v_mul_lo_u32 v15, v14, s2
	v_mul_lo_u32 v29, v17, s3
	;; [unrolled: 1-line block ×3, first 2 shown]
	v_add_nc_u32_e32 v31, 1, v14
	s_waitcnt lgkmcnt(0)
	s_mov_b32 s8, exec_lo
	s_delay_alu instid0(VALU_DEP_4) | instskip(NEXT) | instid1(VALU_DEP_4)
	v_sub_nc_u32_e32 v15, v26, v15
	v_sub_nc_u32_e32 v27, v27, v29
	s_delay_alu instid0(VALU_DEP_4) | instskip(SKIP_1) | instid1(VALU_DEP_4)
	v_sub_nc_u32_e32 v28, v28, v30
	v_add_nc_u32_e32 v26, 1, v17
	v_cmp_le_u32_e32 vcc_lo, s2, v15
	v_subrev_nc_u32_e32 v29, s2, v15
	v_add_nc_u32_e32 v32, 1, v16
	v_cmp_le_u32_e64 s0, s3, v27
	v_cmp_le_u32_e64 s1, s22, v28
	v_subrev_nc_u32_e32 v30, s22, v28
	v_cndmask_b32_e32 v15, v15, v29, vcc_lo
	s_delay_alu instid0(VALU_DEP_4)
	v_cndmask_b32_e64 v17, v17, v26, s0
	v_cndmask_b32_e32 v14, v14, v31, vcc_lo
	v_subrev_nc_u32_e32 v26, s3, v27
	v_cndmask_b32_e64 v16, v16, v32, s1
	v_cmp_le_u32_e32 vcc_lo, s2, v15
	v_cndmask_b32_e64 v15, v28, v30, s1
	s_delay_alu instid0(VALU_DEP_4) | instskip(SKIP_4) | instid1(SALU_CYCLE_1)
	v_cndmask_b32_e64 v26, v27, v26, s0
	v_add_nc_u32_e32 v27, 1, v17
	v_add_nc_u32_e32 v28, 1, v16
	;; [unrolled: 1-line block ×3, first 2 shown]
	s_add_i32 s0, s24, -1
	s_mul_i32 s0, s0, s5
	s_delay_alu instid0(VALU_DEP_1) | instskip(SKIP_2) | instid1(VALU_DEP_3)
	v_cndmask_b32_e32 v14, v14, v29, vcc_lo
	v_cmp_le_u32_e32 vcc_lo, s3, v26
	v_add3_u32 v21, s0, 1, v21
	v_add_nc_u32_e32 v23, v14, v23
	v_cndmask_b32_e32 v17, v17, v27, vcc_lo
	v_cmp_le_u32_e32 vcc_lo, s22, v15
	s_delay_alu instid0(VALU_DEP_3) | instskip(SKIP_1) | instid1(VALU_DEP_4)
	v_mad_u64_u32 v[14:15], null, v23, s5, v[0:1]
	v_cndmask_b32_e32 v16, v16, v28, vcc_lo
	v_add_nc_u32_e32 v17, v17, v24
	s_delay_alu instid0(VALU_DEP_2) | instskip(NEXT) | instid1(VALU_DEP_2)
	v_add_nc_u32_e32 v0, v16, v25
	v_mul_lo_u32 v17, v17, s6
	v_subrev_nc_u32_e32 v23, s30, v14
	s_delay_alu instid0(VALU_DEP_3) | instskip(NEXT) | instid1(VALU_DEP_2)
	v_mul_lo_u32 v16, v0, s7
	v_mul_lo_u32 v26, v23, s18
	s_delay_alu instid0(VALU_DEP_4) | instskip(NEXT) | instid1(VALU_DEP_3)
	v_add_nc_u32_e32 v0, v17, v19
	v_add_nc_u32_e32 v14, v16, v18
	s_delay_alu instid0(VALU_DEP_2) | instskip(NEXT) | instid1(VALU_DEP_2)
	v_subrev_nc_u32_e32 v24, s31, v0
	v_subrev_nc_u32_e32 v0, s4, v14
	s_delay_alu instid0(VALU_DEP_2) | instskip(NEXT) | instid1(VALU_DEP_1)
	v_add_nc_u32_e32 v25, v24, v26
	v_mad_u64_u32 v[14:15], null, v25, s19, v[0:1]
	v_min_i32_e32 v25, s17, v21
	v_mov_b32_e32 v21, 0xffffff80
	s_delay_alu instid0(VALU_DEP_3) | instskip(NEXT) | instid1(VALU_DEP_3)
	v_ashrrev_i32_e32 v15, 31, v14
	v_cmpx_lt_i32_e64 v23, v25
	s_cbranch_execz .LBB3_28
; %bb.17:
	v_add3_u32 v17, v26, v19, v17
	s_add_i32 s0, s25, -1
	s_add_i32 s1, s26, -1
	s_mul_i32 s0, s0, s6
	s_mul_i32 s1, s1, s7
	v_subrev_nc_u32_e32 v17, s31, v17
	v_add3_u32 v19, s0, 1, v20
	v_add3_u32 v20, s1, 1, v22
	s_and_b32 s0, exec_lo, s33
	s_mul_i32 s2, s5, s19
	v_mul_lo_u32 v17, s19, v17
	s_mul_i32 s9, s6, s19
	v_min_i32_e32 v22, s18, v19
	v_min_i32_e32 v26, s19, v20
	s_cselect_b32 s19, s16, 1
	v_mov_b32_e32 v21, 0xffffff80
	s_ashr_i32 s22, s7, 31
	v_cmp_lt_i32_e32 vcc_lo, v24, v22
	v_add3_u32 v16, v17, v18, v16
	v_cmp_lt_i32_e64 s0, v0, v26
	s_mov_b32 s24, s7
	s_mov_b32 s23, 0
	s_delay_alu instid0(VALU_DEP_2) | instskip(SKIP_3) | instid1(VALU_DEP_1)
	v_subrev_nc_u32_e32 v27, s4, v16
	s_mul_i32 s4, s2, s18
	s_mul_i32 s18, s9, s19
	s_mul_i32 s17, s4, s19
	v_mul_lo_u32 v28, s19, v27
	s_mul_i32 s19, s19, s7
	s_branch .LBB3_20
.LBB3_18:                               ;   in Loop: Header=BB3_20 Depth=1
	s_or_b32 exec_lo, exec_lo, s26
.LBB3_19:                               ;   in Loop: Header=BB3_20 Depth=1
	s_delay_alu instid0(SALU_CYCLE_1) | instskip(SKIP_1) | instid1(VALU_DEP_2)
	s_or_b32 exec_lo, exec_lo, s25
	v_add_nc_u32_e32 v23, s5, v23
	v_add_nc_u32_e32 v28, s17, v28
	;; [unrolled: 1-line block ×3, first 2 shown]
	s_delay_alu instid0(VALU_DEP_3) | instskip(NEXT) | instid1(VALU_DEP_1)
	v_cmp_ge_i32_e64 s1, v23, v25
	s_or_b32 s23, s1, s23
	s_delay_alu instid0(SALU_CYCLE_1)
	s_and_not1_b32 exec_lo, exec_lo, s23
	s_cbranch_execz .LBB3_27
.LBB3_20:                               ; =>This Loop Header: Depth=1
                                        ;     Child Loop BB3_23 Depth 2
                                        ;       Child Loop BB3_25 Depth 3
	s_and_saveexec_b32 s25, vcc_lo
	s_cbranch_execz .LBB3_19
; %bb.21:                               ;   in Loop: Header=BB3_20 Depth=1
	s_delay_alu instid0(VALU_DEP_1)
	v_dual_mov_b32 v16, v27 :: v_dual_mov_b32 v29, v28
	v_mov_b32_e32 v30, v24
	s_mov_b32 s26, 0
	s_branch .LBB3_23
.LBB3_22:                               ;   in Loop: Header=BB3_23 Depth=2
	s_or_b32 exec_lo, exec_lo, s27
	v_add_nc_u32_e32 v30, s6, v30
	v_add_nc_u32_e32 v29, s18, v29
	;; [unrolled: 1-line block ×3, first 2 shown]
	s_delay_alu instid0(VALU_DEP_3) | instskip(NEXT) | instid1(VALU_DEP_1)
	v_cmp_ge_i32_e64 s1, v30, v22
	s_or_b32 s26, s1, s26
	s_delay_alu instid0(SALU_CYCLE_1)
	s_and_not1_b32 exec_lo, exec_lo, s26
	s_cbranch_execz .LBB3_18
.LBB3_23:                               ;   Parent Loop BB3_20 Depth=1
                                        ; =>  This Loop Header: Depth=2
                                        ;       Child Loop BB3_25 Depth 3
	s_delay_alu instid0(VALU_DEP_2)
	v_ashrrev_i32_e32 v17, 31, v16
	s_and_saveexec_b32 s27, s0
	s_cbranch_execz .LBB3_22
; %bb.24:                               ;   in Loop: Header=BB3_23 Depth=2
	s_delay_alu instid0(VALU_DEP_1)
	v_dual_mov_b32 v18, v17 :: v_dual_mov_b32 v31, v0
	v_mov_b32_e32 v17, v16
	v_mov_b32_e32 v19, v29
	s_mov_b32 s28, 0
	s_set_inst_prefetch_distance 0x1
	.p2align	6
.LBB3_25:                               ;   Parent Loop BB3_20 Depth=1
                                        ;     Parent Loop BB3_23 Depth=2
                                        ; =>    This Inner Loop Header: Depth=3
	s_delay_alu instid0(VALU_DEP_1) | instskip(SKIP_1) | instid1(VALU_DEP_2)
	v_ashrrev_i32_e32 v20, 31, v19
	v_add_nc_u32_e32 v31, s7, v31
	v_lshlrev_b64 v[32:33], 1, v[19:20]
	v_add_nc_u32_e32 v19, s19, v19
	s_delay_alu instid0(VALU_DEP_2) | instskip(NEXT) | instid1(VALU_DEP_1)
	v_add_co_u32 v32, s1, v12, v32
	v_add_co_ci_u32_e64 v33, s1, v13, v33, s1
	v_cmp_ge_i32_e64 s1, v31, v26
	global_load_u16 v20, v[32:33], off
	v_lshlrev_b32_e32 v32, 16, v21
	s_waitcnt vmcnt(0)
	v_lshlrev_b32_e32 v33, 16, v20
	s_delay_alu instid0(VALU_DEP_1) | instskip(SKIP_1) | instid1(VALU_DEP_1)
	v_cmp_lt_f32_e64 s2, v32, v33
	v_cmp_u_f32_e64 s3, v33, v33
	s_or_b32 s2, s2, s3
	s_or_b32 s28, s1, s28
	v_cndmask_b32_e64 v21, v21, v20, s2
	v_cndmask_b32_e64 v15, v15, v18, s2
	;; [unrolled: 1-line block ×3, first 2 shown]
	v_add_co_u32 v17, s2, v17, s24
	s_delay_alu instid0(VALU_DEP_1)
	v_add_co_ci_u32_e64 v18, s2, s22, v18, s2
	s_and_not1_b32 exec_lo, exec_lo, s28
	s_cbranch_execnz .LBB3_25
; %bb.26:                               ;   in Loop: Header=BB3_23 Depth=2
	s_set_inst_prefetch_distance 0x2
	s_or_b32 exec_lo, exec_lo, s28
	s_branch .LBB3_22
.LBB3_27:
	s_or_b32 exec_lo, exec_lo, s23
.LBB3_28:
	s_delay_alu instid0(SALU_CYCLE_1) | instskip(NEXT) | instid1(SALU_CYCLE_1)
	s_or_b32 exec_lo, exec_lo, s8
	s_and_b32 vcc_lo, exec_lo, s36
	s_cbranch_vccz .LBB3_30
; %bb.29:
	v_mad_u64_u32 v[12:13], null, v1, s12, v[4:5]
	v_mul_lo_u32 v0, v1, s13
	v_mul_lo_u32 v1, v2, s12
	s_delay_alu instid0(VALU_DEP_3) | instskip(NEXT) | instid1(VALU_DEP_2)
	v_mad_u64_u32 v[16:17], null, v12, s14, v[8:9]
	v_add3_u32 v0, v1, v13, v0
	v_mul_lo_u32 v1, v12, s15
	s_delay_alu instid0(VALU_DEP_2) | instskip(NEXT) | instid1(VALU_DEP_4)
	v_mul_lo_u32 v0, v0, s14
	v_mul_lo_u32 v2, v16, s35
	s_delay_alu instid0(VALU_DEP_2) | instskip(NEXT) | instid1(VALU_DEP_1)
	v_add3_u32 v0, v0, v17, v1
	v_mul_lo_u32 v12, v0, s34
	v_mad_u64_u32 v[0:1], null, v16, s34, v[10:11]
	s_delay_alu instid0(VALU_DEP_1)
	v_add3_u32 v1, v12, v1, v2
	s_cbranch_execz .LBB3_31
	s_branch .LBB3_32
.LBB3_30:
                                        ; implicit-def: $vgpr0_vgpr1
.LBB3_31:
	v_mad_i64_i32 v[0:1], null, v3, s12, v[4:5]
	s_ashr_i32 s0, s16, 31
	s_delay_alu instid0(VALU_DEP_1) | instskip(NEXT) | instid1(VALU_DEP_2)
	v_mul_lo_u32 v3, v0, s15
	v_mul_lo_u32 v4, v1, s14
	v_mad_u64_u32 v[1:2], null, v0, s14, v[8:9]
	s_delay_alu instid0(VALU_DEP_1) | instskip(NEXT) | instid1(VALU_DEP_2)
	v_add3_u32 v0, v4, v2, v3
	v_mul_lo_u32 v4, v1, s35
	v_mad_u64_u32 v[2:3], null, v1, s34, v[10:11]
	s_delay_alu instid0(VALU_DEP_3) | instskip(NEXT) | instid1(VALU_DEP_1)
	v_mul_lo_u32 v0, v0, s34
	v_add3_u32 v0, v0, v3, v4
	s_delay_alu instid0(VALU_DEP_3) | instskip(NEXT) | instid1(VALU_DEP_2)
	v_mul_lo_u32 v3, v2, s0
	v_mul_lo_u32 v4, v0, s16
	v_mad_u64_u32 v[0:1], null, v2, s16, v[6:7]
	s_delay_alu instid0(VALU_DEP_1)
	v_add3_u32 v1, v4, v1, v3
.LBB3_32:
	s_delay_alu instid0(VALU_DEP_1) | instskip(SKIP_1) | instid1(VALU_DEP_2)
	v_lshlrev_b64 v[2:3], 1, v[0:1]
	v_lshlrev_b64 v[0:1], 3, v[0:1]
	v_add_co_u32 v2, vcc_lo, s10, v2
	s_delay_alu instid0(VALU_DEP_3) | instskip(NEXT) | instid1(VALU_DEP_3)
	v_add_co_ci_u32_e32 v3, vcc_lo, s11, v3, vcc_lo
	v_add_co_u32 v0, vcc_lo, s20, v0
	s_delay_alu instid0(VALU_DEP_4)
	v_add_co_ci_u32_e32 v1, vcc_lo, s21, v1, vcc_lo
	global_store_b16 v[2:3], v21, off
	global_store_b64 v[0:1], v[14:15], off
.LBB3_33:
	s_nop 0
	s_sendmsg sendmsg(MSG_DEALLOC_VGPRS)
	s_endpgm
	.section	.rodata,"a",@progbits
	.p2align	6, 0x0
	.amdhsa_kernel _ZN2at6native12_GLOBAL__N_140max_pool3d_with_indices_single_out_frameIN3c108BFloat16EEEvPKT_PS5_Pliiiiiiiiiiiiiiiiiiiiib
		.amdhsa_group_segment_fixed_size 0
		.amdhsa_private_segment_fixed_size 0
		.amdhsa_kernarg_size 368
		.amdhsa_user_sgpr_count 13
		.amdhsa_user_sgpr_dispatch_ptr 0
		.amdhsa_user_sgpr_queue_ptr 0
		.amdhsa_user_sgpr_kernarg_segment_ptr 1
		.amdhsa_user_sgpr_dispatch_id 0
		.amdhsa_user_sgpr_private_segment_size 0
		.amdhsa_wavefront_size32 1
		.amdhsa_uses_dynamic_stack 0
		.amdhsa_enable_private_segment 0
		.amdhsa_system_sgpr_workgroup_id_x 1
		.amdhsa_system_sgpr_workgroup_id_y 1
		.amdhsa_system_sgpr_workgroup_id_z 1
		.amdhsa_system_sgpr_workgroup_info 0
		.amdhsa_system_vgpr_workitem_id 2
		.amdhsa_next_free_vgpr 34
		.amdhsa_next_free_sgpr 38
		.amdhsa_reserve_vcc 1
		.amdhsa_float_round_mode_32 0
		.amdhsa_float_round_mode_16_64 0
		.amdhsa_float_denorm_mode_32 3
		.amdhsa_float_denorm_mode_16_64 3
		.amdhsa_dx10_clamp 1
		.amdhsa_ieee_mode 1
		.amdhsa_fp16_overflow 0
		.amdhsa_workgroup_processor_mode 1
		.amdhsa_memory_ordered 1
		.amdhsa_forward_progress 0
		.amdhsa_shared_vgpr_count 0
		.amdhsa_exception_fp_ieee_invalid_op 0
		.amdhsa_exception_fp_denorm_src 0
		.amdhsa_exception_fp_ieee_div_zero 0
		.amdhsa_exception_fp_ieee_overflow 0
		.amdhsa_exception_fp_ieee_underflow 0
		.amdhsa_exception_fp_ieee_inexact 0
		.amdhsa_exception_int_div_zero 0
	.end_amdhsa_kernel
	.section	.text._ZN2at6native12_GLOBAL__N_140max_pool3d_with_indices_single_out_frameIN3c108BFloat16EEEvPKT_PS5_Pliiiiiiiiiiiiiiiiiiiiib,"axG",@progbits,_ZN2at6native12_GLOBAL__N_140max_pool3d_with_indices_single_out_frameIN3c108BFloat16EEEvPKT_PS5_Pliiiiiiiiiiiiiiiiiiiiib,comdat
.Lfunc_end3:
	.size	_ZN2at6native12_GLOBAL__N_140max_pool3d_with_indices_single_out_frameIN3c108BFloat16EEEvPKT_PS5_Pliiiiiiiiiiiiiiiiiiiiib, .Lfunc_end3-_ZN2at6native12_GLOBAL__N_140max_pool3d_with_indices_single_out_frameIN3c108BFloat16EEEvPKT_PS5_Pliiiiiiiiiiiiiiiiiiiiib
                                        ; -- End function
	.section	.AMDGPU.csdata,"",@progbits
; Kernel info:
; codeLenInByte = 3380
; NumSgprs: 40
; NumVgprs: 34
; ScratchSize: 0
; MemoryBound: 0
; FloatMode: 240
; IeeeMode: 1
; LDSByteSize: 0 bytes/workgroup (compile time only)
; SGPRBlocks: 4
; VGPRBlocks: 4
; NumSGPRsForWavesPerEU: 40
; NumVGPRsForWavesPerEU: 34
; Occupancy: 16
; WaveLimiterHint : 0
; COMPUTE_PGM_RSRC2:SCRATCH_EN: 0
; COMPUTE_PGM_RSRC2:USER_SGPR: 13
; COMPUTE_PGM_RSRC2:TRAP_HANDLER: 0
; COMPUTE_PGM_RSRC2:TGID_X_EN: 1
; COMPUTE_PGM_RSRC2:TGID_Y_EN: 1
; COMPUTE_PGM_RSRC2:TGID_Z_EN: 1
; COMPUTE_PGM_RSRC2:TIDIG_COMP_CNT: 2
	.section	.text._ZN2at6native12_GLOBAL__N_149max_pool3d_with_indices_backward_single_out_frameIdEEvPT_PKS3_PKliiiiiiiiib,"axG",@progbits,_ZN2at6native12_GLOBAL__N_149max_pool3d_with_indices_backward_single_out_frameIdEEvPT_PKS3_PKliiiiiiiiib,comdat
	.globl	_ZN2at6native12_GLOBAL__N_149max_pool3d_with_indices_backward_single_out_frameIdEEvPT_PKS3_PKliiiiiiiiib ; -- Begin function _ZN2at6native12_GLOBAL__N_149max_pool3d_with_indices_backward_single_out_frameIdEEvPT_PKS3_PKliiiiiiiiib
	.p2align	8
	.type	_ZN2at6native12_GLOBAL__N_149max_pool3d_with_indices_backward_single_out_frameIdEEvPT_PKS3_PKliiiiiiiiib,@function
_ZN2at6native12_GLOBAL__N_149max_pool3d_with_indices_backward_single_out_frameIdEEvPT_PKS3_PKliiiiiiiiib: ; @_ZN2at6native12_GLOBAL__N_149max_pool3d_with_indices_backward_single_out_frameIdEEvPT_PKS3_PKliiiiiiiiib
; %bb.0:
	s_clause 0x2
	s_load_b64 s[2:3], s[0:1], 0x38
	s_load_b64 s[16:17], s[0:1], 0x4c
	s_load_b256 s[4:11], s[0:1], 0x18
	v_bfe_u32 v1, v0, 20, 10
	s_waitcnt lgkmcnt(0)
	s_bitcmp1_b32 s3, 0
	s_cselect_b32 s3, -1, 0
	s_and_b32 s12, s17, 0xffff
	s_and_b32 vcc_lo, exec_lo, s3
	s_mul_i32 s15, s15, s12
	s_mov_b32 s12, s9
	v_add3_u32 v7, s15, s2, v1
	s_mov_b32 s2, -1
	s_cbranch_vccnz .LBB4_2
; %bb.1:
	v_cvt_f32_u32_e32 v1, s9
	s_sub_i32 s2, 0, s9
	v_mov_b32_e32 v6, 0
	s_delay_alu instid0(VALU_DEP_2) | instskip(SKIP_2) | instid1(VALU_DEP_1)
	v_rcp_iflag_f32_e32 v1, v1
	s_waitcnt_depctr 0xfff
	v_mul_f32_e32 v1, 0x4f7ffffe, v1
	v_cvt_u32_f32_e32 v1, v1
	s_delay_alu instid0(VALU_DEP_1) | instskip(SKIP_1) | instid1(VALU_DEP_1)
	v_mul_lo_u32 v2, s2, v1
	s_mov_b32 s2, 0
	v_mul_hi_u32 v2, v1, v2
	s_delay_alu instid0(VALU_DEP_1) | instskip(NEXT) | instid1(VALU_DEP_1)
	v_add_nc_u32_e32 v1, v1, v2
	v_mul_hi_u32 v1, v7, v1
	s_delay_alu instid0(VALU_DEP_1) | instskip(SKIP_1) | instid1(VALU_DEP_2)
	v_mul_lo_u32 v2, v1, s9
	v_add_nc_u32_e32 v3, 1, v1
	v_sub_nc_u32_e32 v2, v7, v2
	s_delay_alu instid0(VALU_DEP_1) | instskip(SKIP_1) | instid1(VALU_DEP_2)
	v_subrev_nc_u32_e32 v4, s9, v2
	v_cmp_le_u32_e32 vcc_lo, s9, v2
	v_dual_cndmask_b32 v1, v1, v3 :: v_dual_cndmask_b32 v2, v2, v4
	s_delay_alu instid0(VALU_DEP_1) | instskip(NEXT) | instid1(VALU_DEP_2)
	v_add_nc_u32_e32 v3, 1, v1
	v_cmp_le_u32_e32 vcc_lo, s9, v2
	s_delay_alu instid0(VALU_DEP_2) | instskip(NEXT) | instid1(VALU_DEP_1)
	v_cndmask_b32_e32 v1, v1, v3, vcc_lo
	v_mul_lo_u32 v2, v1, s9
	s_delay_alu instid0(VALU_DEP_1)
	v_sub_nc_u32_e32 v5, v7, v2
	v_mov_b32_e32 v2, v6
	s_branch .LBB4_3
.LBB4_2:
                                        ; implicit-def: $vgpr5_vgpr6
                                        ; implicit-def: $vgpr1_vgpr2
.LBB4_3:
	v_cndmask_b32_e64 v3, 0, 1, s2
	v_mov_b32_e32 v4, s2
	s_delay_alu instid0(VALU_DEP_2)
	v_cmp_ne_u32_e32 vcc_lo, 1, v3
	v_mov_b32_e32 v3, s2
	s_cbranch_vccnz .LBB4_8
; %bb.4:
	v_cvt_f32_u32_e32 v1, s4
	s_sub_i32 s2, 0, s4
	s_ashr_i32 s15, s9, 31
	s_mov_b32 s18, 0
	s_mov_b32 s19, s15
	v_rcp_iflag_f32_e32 v1, v1
	s_cmp_lg_u64 s[18:19], 0
	s_waitcnt_depctr 0xfff
	v_mul_f32_e32 v1, 0x4f7ffffe, v1
	s_delay_alu instid0(VALU_DEP_1) | instskip(NEXT) | instid1(VALU_DEP_1)
	v_cvt_u32_f32_e32 v1, v1
	v_mul_lo_u32 v2, s2, v1
	s_delay_alu instid0(VALU_DEP_1) | instskip(NEXT) | instid1(VALU_DEP_1)
	v_mul_hi_u32 v2, v1, v2
	v_add_nc_u32_e32 v1, v1, v2
	s_delay_alu instid0(VALU_DEP_1) | instskip(NEXT) | instid1(VALU_DEP_1)
	v_mul_hi_u32 v1, v7, v1
	v_mul_lo_u32 v2, v1, s4
	v_add_nc_u32_e32 v3, 1, v1
	s_delay_alu instid0(VALU_DEP_2) | instskip(NEXT) | instid1(VALU_DEP_1)
	v_sub_nc_u32_e32 v2, v7, v2
	v_subrev_nc_u32_e32 v4, s4, v2
	v_cmp_le_u32_e32 vcc_lo, s4, v2
	s_delay_alu instid0(VALU_DEP_4) | instskip(NEXT) | instid1(VALU_DEP_3)
	v_cndmask_b32_e32 v1, v1, v3, vcc_lo
	v_dual_cndmask_b32 v3, v2, v4 :: v_dual_mov_b32 v2, 0
	s_delay_alu instid0(VALU_DEP_2) | instskip(NEXT) | instid1(VALU_DEP_2)
	v_add_nc_u32_e32 v4, 1, v1
	v_cmp_le_u32_e32 vcc_lo, s4, v3
	s_delay_alu instid0(VALU_DEP_2)
	v_cndmask_b32_e32 v1, v1, v4, vcc_lo
	s_cbranch_scc0 .LBB4_13
; %bb.5:
	s_add_u32 s22, s12, s15
	s_mov_b32 s20, s15
	s_mov_b32 s21, s15
	s_addc_u32 s23, s15, s15
	s_delay_alu instid0(SALU_CYCLE_1) | instskip(NEXT) | instid1(SALU_CYCLE_1)
	s_xor_b64 s[22:23], s[22:23], s[20:21]
	v_cvt_f32_u32_e32 v3, s22
	v_cvt_f32_u32_e32 v4, s23
	s_sub_u32 s2, 0, s22
	s_subb_u32 s17, 0, s23
	s_delay_alu instid0(VALU_DEP_1) | instskip(NEXT) | instid1(VALU_DEP_1)
	v_fmamk_f32 v3, v4, 0x4f800000, v3
	v_rcp_f32_e32 v3, v3
	s_waitcnt_depctr 0xfff
	v_mul_f32_e32 v3, 0x5f7ffffc, v3
	s_delay_alu instid0(VALU_DEP_1) | instskip(NEXT) | instid1(VALU_DEP_1)
	v_mul_f32_e32 v4, 0x2f800000, v3
	v_trunc_f32_e32 v4, v4
	s_delay_alu instid0(VALU_DEP_1) | instskip(SKIP_1) | instid1(VALU_DEP_2)
	v_fmamk_f32 v3, v4, 0xcf800000, v3
	v_cvt_u32_f32_e32 v4, v4
	v_cvt_u32_f32_e32 v3, v3
	s_delay_alu instid0(VALU_DEP_2) | instskip(NEXT) | instid1(VALU_DEP_2)
	v_mul_lo_u32 v5, s2, v4
	v_mul_hi_u32 v6, s2, v3
	v_mul_lo_u32 v8, s17, v3
	s_delay_alu instid0(VALU_DEP_2) | instskip(SKIP_1) | instid1(VALU_DEP_2)
	v_add_nc_u32_e32 v5, v6, v5
	v_mul_lo_u32 v6, s2, v3
	v_add_nc_u32_e32 v5, v5, v8
	s_delay_alu instid0(VALU_DEP_2) | instskip(NEXT) | instid1(VALU_DEP_2)
	v_mul_hi_u32 v8, v3, v6
	v_mul_lo_u32 v9, v3, v5
	v_mul_hi_u32 v10, v3, v5
	v_mul_hi_u32 v11, v4, v6
	v_mul_lo_u32 v6, v4, v6
	v_mul_hi_u32 v12, v4, v5
	v_mul_lo_u32 v5, v4, v5
	v_add_co_u32 v8, vcc_lo, v8, v9
	v_add_co_ci_u32_e32 v9, vcc_lo, 0, v10, vcc_lo
	s_delay_alu instid0(VALU_DEP_2) | instskip(NEXT) | instid1(VALU_DEP_2)
	v_add_co_u32 v6, vcc_lo, v8, v6
	v_add_co_ci_u32_e32 v6, vcc_lo, v9, v11, vcc_lo
	v_add_co_ci_u32_e32 v8, vcc_lo, 0, v12, vcc_lo
	s_delay_alu instid0(VALU_DEP_2) | instskip(NEXT) | instid1(VALU_DEP_2)
	v_add_co_u32 v5, vcc_lo, v6, v5
	v_add_co_ci_u32_e32 v6, vcc_lo, 0, v8, vcc_lo
	s_delay_alu instid0(VALU_DEP_2) | instskip(NEXT) | instid1(VALU_DEP_2)
	v_add_co_u32 v3, vcc_lo, v3, v5
	v_add_co_ci_u32_e32 v4, vcc_lo, v4, v6, vcc_lo
	s_delay_alu instid0(VALU_DEP_2) | instskip(SKIP_1) | instid1(VALU_DEP_3)
	v_mul_hi_u32 v5, s2, v3
	v_mul_lo_u32 v8, s17, v3
	v_mul_lo_u32 v6, s2, v4
	s_delay_alu instid0(VALU_DEP_1) | instskip(SKIP_1) | instid1(VALU_DEP_2)
	v_add_nc_u32_e32 v5, v5, v6
	v_mul_lo_u32 v6, s2, v3
	v_add_nc_u32_e32 v5, v5, v8
	s_delay_alu instid0(VALU_DEP_2) | instskip(NEXT) | instid1(VALU_DEP_2)
	v_mul_hi_u32 v8, v3, v6
	v_mul_lo_u32 v9, v3, v5
	v_mul_hi_u32 v10, v3, v5
	v_mul_hi_u32 v11, v4, v6
	v_mul_lo_u32 v6, v4, v6
	v_mul_hi_u32 v12, v4, v5
	v_mul_lo_u32 v5, v4, v5
	v_add_co_u32 v8, vcc_lo, v8, v9
	v_add_co_ci_u32_e32 v9, vcc_lo, 0, v10, vcc_lo
	s_delay_alu instid0(VALU_DEP_2) | instskip(NEXT) | instid1(VALU_DEP_2)
	v_add_co_u32 v6, vcc_lo, v8, v6
	v_add_co_ci_u32_e32 v6, vcc_lo, v9, v11, vcc_lo
	v_add_co_ci_u32_e32 v8, vcc_lo, 0, v12, vcc_lo
	s_delay_alu instid0(VALU_DEP_2) | instskip(NEXT) | instid1(VALU_DEP_2)
	v_add_co_u32 v5, vcc_lo, v6, v5
	v_add_co_ci_u32_e32 v6, vcc_lo, 0, v8, vcc_lo
	s_delay_alu instid0(VALU_DEP_2) | instskip(NEXT) | instid1(VALU_DEP_2)
	v_add_co_u32 v8, vcc_lo, v3, v5
	v_add_co_ci_u32_e32 v10, vcc_lo, v4, v6, vcc_lo
	s_delay_alu instid0(VALU_DEP_2) | instskip(SKIP_1) | instid1(VALU_DEP_3)
	v_mul_hi_u32 v11, v1, v8
	v_mad_u64_u32 v[5:6], null, 0, v8, 0
	v_mad_u64_u32 v[3:4], null, v1, v10, 0
	;; [unrolled: 1-line block ×3, first 2 shown]
	s_delay_alu instid0(VALU_DEP_2) | instskip(NEXT) | instid1(VALU_DEP_3)
	v_add_co_u32 v3, vcc_lo, v11, v3
	v_add_co_ci_u32_e32 v4, vcc_lo, 0, v4, vcc_lo
	s_delay_alu instid0(VALU_DEP_2) | instskip(NEXT) | instid1(VALU_DEP_2)
	v_add_co_u32 v3, vcc_lo, v3, v5
	v_add_co_ci_u32_e32 v3, vcc_lo, v4, v6, vcc_lo
	v_add_co_ci_u32_e32 v4, vcc_lo, 0, v9, vcc_lo
	s_delay_alu instid0(VALU_DEP_2) | instskip(NEXT) | instid1(VALU_DEP_2)
	v_add_co_u32 v5, vcc_lo, v3, v8
	v_add_co_ci_u32_e32 v6, vcc_lo, 0, v4, vcc_lo
	s_delay_alu instid0(VALU_DEP_2) | instskip(SKIP_1) | instid1(VALU_DEP_3)
	v_mul_lo_u32 v8, s23, v5
	v_mad_u64_u32 v[3:4], null, s22, v5, 0
	v_mul_lo_u32 v9, s22, v6
	s_delay_alu instid0(VALU_DEP_2) | instskip(NEXT) | instid1(VALU_DEP_2)
	v_sub_co_u32 v3, vcc_lo, v1, v3
	v_add3_u32 v4, v4, v9, v8
	s_delay_alu instid0(VALU_DEP_1) | instskip(NEXT) | instid1(VALU_DEP_1)
	v_sub_nc_u32_e32 v8, 0, v4
	v_subrev_co_ci_u32_e64 v8, s2, s23, v8, vcc_lo
	v_add_co_u32 v9, s2, v5, 2
	s_delay_alu instid0(VALU_DEP_1) | instskip(SKIP_3) | instid1(VALU_DEP_3)
	v_add_co_ci_u32_e64 v10, s2, 0, v6, s2
	v_sub_co_u32 v11, s2, v3, s22
	v_sub_co_ci_u32_e32 v4, vcc_lo, 0, v4, vcc_lo
	v_subrev_co_ci_u32_e64 v8, s2, 0, v8, s2
	v_cmp_le_u32_e32 vcc_lo, s22, v11
	s_delay_alu instid0(VALU_DEP_3) | instskip(SKIP_1) | instid1(VALU_DEP_4)
	v_cmp_eq_u32_e64 s2, s23, v4
	v_cndmask_b32_e64 v11, 0, -1, vcc_lo
	v_cmp_le_u32_e32 vcc_lo, s23, v8
	v_cndmask_b32_e64 v12, 0, -1, vcc_lo
	v_cmp_le_u32_e32 vcc_lo, s22, v3
	;; [unrolled: 2-line block ×3, first 2 shown]
	v_cndmask_b32_e64 v13, 0, -1, vcc_lo
	v_cmp_eq_u32_e32 vcc_lo, s23, v8
	s_delay_alu instid0(VALU_DEP_2) | instskip(SKIP_3) | instid1(VALU_DEP_3)
	v_cndmask_b32_e64 v3, v13, v3, s2
	v_cndmask_b32_e32 v8, v12, v11, vcc_lo
	v_add_co_u32 v11, vcc_lo, v5, 1
	v_add_co_ci_u32_e32 v12, vcc_lo, 0, v6, vcc_lo
	v_cmp_ne_u32_e32 vcc_lo, 0, v8
	s_delay_alu instid0(VALU_DEP_2) | instskip(NEXT) | instid1(VALU_DEP_4)
	v_cndmask_b32_e32 v4, v12, v10, vcc_lo
	v_cndmask_b32_e32 v8, v11, v9, vcc_lo
	v_cmp_ne_u32_e32 vcc_lo, 0, v3
	s_delay_alu instid0(VALU_DEP_3) | instskip(NEXT) | instid1(VALU_DEP_3)
	v_cndmask_b32_e32 v3, v6, v4, vcc_lo
	v_cndmask_b32_e32 v4, v5, v8, vcc_lo
	s_delay_alu instid0(VALU_DEP_2) | instskip(NEXT) | instid1(VALU_DEP_2)
	v_xor_b32_e32 v5, s21, v3
	v_xor_b32_e32 v4, s20, v4
	s_delay_alu instid0(VALU_DEP_1) | instskip(NEXT) | instid1(VALU_DEP_3)
	v_sub_co_u32 v3, vcc_lo, v4, s20
	v_subrev_co_ci_u32_e32 v4, vcc_lo, s21, v5, vcc_lo
	s_and_not1_b32 vcc_lo, exec_lo, s18
	s_cbranch_vccnz .LBB4_7
.LBB4_6:
	v_cvt_f32_u32_e32 v3, s12
	s_sub_i32 s2, 0, s12
	s_delay_alu instid0(VALU_DEP_1) | instskip(SKIP_2) | instid1(VALU_DEP_1)
	v_rcp_iflag_f32_e32 v3, v3
	s_waitcnt_depctr 0xfff
	v_mul_f32_e32 v3, 0x4f7ffffe, v3
	v_cvt_u32_f32_e32 v3, v3
	s_delay_alu instid0(VALU_DEP_1) | instskip(NEXT) | instid1(VALU_DEP_1)
	v_mul_lo_u32 v4, s2, v3
	v_mul_hi_u32 v4, v3, v4
	s_delay_alu instid0(VALU_DEP_1) | instskip(NEXT) | instid1(VALU_DEP_1)
	v_add_nc_u32_e32 v3, v3, v4
	v_mul_hi_u32 v3, v1, v3
	s_delay_alu instid0(VALU_DEP_1) | instskip(SKIP_1) | instid1(VALU_DEP_2)
	v_mul_lo_u32 v4, v3, s12
	v_add_nc_u32_e32 v5, 1, v3
	v_sub_nc_u32_e32 v4, v1, v4
	s_delay_alu instid0(VALU_DEP_1) | instskip(SKIP_1) | instid1(VALU_DEP_2)
	v_subrev_nc_u32_e32 v6, s12, v4
	v_cmp_le_u32_e32 vcc_lo, s12, v4
	v_dual_cndmask_b32 v4, v4, v6 :: v_dual_cndmask_b32 v3, v3, v5
	s_delay_alu instid0(VALU_DEP_1) | instskip(NEXT) | instid1(VALU_DEP_2)
	v_cmp_le_u32_e32 vcc_lo, s12, v4
	v_dual_mov_b32 v4, 0 :: v_dual_add_nc_u32 v5, 1, v3
	s_delay_alu instid0(VALU_DEP_1)
	v_cndmask_b32_e32 v3, v3, v5, vcc_lo
.LBB4_7:
	s_delay_alu instid0(VALU_DEP_1) | instskip(NEXT) | instid1(VALU_DEP_2)
	v_mul_lo_u32 v4, v4, s12
	v_mul_lo_u32 v8, v3, s15
	v_mad_u64_u32 v[5:6], null, v3, s12, 0
	v_mul_lo_u32 v9, v1, s4
	s_delay_alu instid0(VALU_DEP_2) | instskip(NEXT) | instid1(VALU_DEP_3)
	v_add3_u32 v6, v6, v8, v4
	v_sub_co_u32 v5, vcc_lo, v1, v5
	s_delay_alu instid0(VALU_DEP_3) | instskip(NEXT) | instid1(VALU_DEP_3)
	v_sub_nc_u32_e32 v4, v7, v9
	v_sub_co_ci_u32_e32 v6, vcc_lo, 0, v6, vcc_lo
.LBB4_8:
	v_bfe_u32 v9, v0, 10, 10
	s_lshr_b32 s2, s16, 16
	s_xor_b32 s18, s3, -1
	s_ashr_i32 s15, s10, 31
	s_delay_alu instid0(VALU_DEP_1) | instskip(SKIP_3) | instid1(VALU_DEP_1)
	v_mad_u64_u32 v[7:8], null, s14, s2, v[9:10]
	v_mov_b32_e32 v8, 0
	s_mov_b32 s14, s10
	s_mov_b32 s2, exec_lo
	v_cmpx_gt_i64_e64 s[14:15], v[7:8]
	s_cbranch_execz .LBB4_24
; %bb.9:
	v_and_b32_e32 v0, 0x3ff, v0
	s_and_b32 s2, s16, 0xffff
	s_ashr_i32 s17, s11, 31
	s_mov_b32 s16, s11
	s_delay_alu instid0(VALU_DEP_1) | instskip(SKIP_1) | instid1(VALU_DEP_1)
	v_mad_u64_u32 v[9:10], null, s13, s2, v[0:1]
	v_mov_b32_e32 v10, v8
	v_cmp_gt_i64_e32 vcc_lo, s[16:17], v[9:10]
	s_and_b32 exec_lo, exec_lo, vcc_lo
	s_cbranch_execz .LBB4_24
; %bb.10:
	s_ashr_i32 s13, s9, 31
	v_cmp_gt_i32_e64 s2, s8, v3
	v_cmp_gt_i64_e32 vcc_lo, s[12:13], v[5:6]
	v_cmp_gt_i32_e64 s3, s4, v4
	s_delay_alu instid0(VALU_DEP_3)
	s_and_b32 s2, vcc_lo, s2
	s_delay_alu instid0(VALU_DEP_1) | instid1(SALU_CYCLE_1)
	s_and_b32 s2, s3, s2
	s_delay_alu instid0(SALU_CYCLE_1)
	s_and_b32 exec_lo, exec_lo, s2
	s_cbranch_execz .LBB4_24
; %bb.11:
	v_cndmask_b32_e64 v0, 0, 1, s18
	s_and_not1_b32 vcc_lo, exec_lo, s18
	s_cbranch_vccnz .LBB4_14
; %bb.12:
	v_mad_u64_u32 v[11:12], null, v1, s12, v[5:6]
	v_mul_lo_u32 v13, v1, s13
	v_mul_lo_u32 v14, v2, s12
	s_delay_alu instid0(VALU_DEP_3) | instskip(NEXT) | instid1(VALU_DEP_2)
	v_mul_lo_u32 v15, v11, s15
	v_add3_u32 v12, v14, v12, v13
	v_mad_u64_u32 v[13:14], null, v11, s14, v[7:8]
	s_delay_alu instid0(VALU_DEP_2) | instskip(NEXT) | instid1(VALU_DEP_1)
	v_mul_lo_u32 v11, v12, s14
	v_add3_u32 v11, v11, v14, v15
	s_delay_alu instid0(VALU_DEP_3) | instskip(NEXT) | instid1(VALU_DEP_2)
	v_mul_lo_u32 v14, v13, s17
	v_mul_lo_u32 v15, v11, s16
	v_mad_u64_u32 v[11:12], null, v13, s16, v[9:10]
	s_delay_alu instid0(VALU_DEP_1)
	v_add3_u32 v12, v15, v12, v14
	s_cbranch_execz .LBB4_15
	s_branch .LBB4_16
.LBB4_13:
                                        ; implicit-def: $vgpr3_vgpr4
	s_branch .LBB4_6
.LBB4_14:
                                        ; implicit-def: $vgpr11_vgpr12
.LBB4_15:
	v_mad_i64_i32 v[11:12], null, v3, s12, v[5:6]
	s_ashr_i32 s2, s4, 31
	s_delay_alu instid0(VALU_DEP_1) | instskip(NEXT) | instid1(VALU_DEP_2)
	v_mul_lo_u32 v13, v11, s15
	v_mul_lo_u32 v12, v12, s14
	v_mad_u64_u32 v[5:6], null, v11, s14, v[7:8]
	s_delay_alu instid0(VALU_DEP_1) | instskip(NEXT) | instid1(VALU_DEP_2)
	v_add3_u32 v8, v12, v6, v13
	v_mul_lo_u32 v11, v5, s17
	v_mad_u64_u32 v[6:7], null, v5, s16, v[9:10]
	s_delay_alu instid0(VALU_DEP_3) | instskip(NEXT) | instid1(VALU_DEP_2)
	v_mul_lo_u32 v5, v8, s16
	v_mul_lo_u32 v8, v6, s2
	s_delay_alu instid0(VALU_DEP_2) | instskip(SKIP_1) | instid1(VALU_DEP_2)
	v_add3_u32 v7, v5, v7, v11
	v_ashrrev_i32_e32 v5, 31, v4
	v_mul_lo_u32 v7, v7, s4
	s_delay_alu instid0(VALU_DEP_2) | instskip(NEXT) | instid1(VALU_DEP_1)
	v_mad_u64_u32 v[11:12], null, v6, s4, v[4:5]
	v_add3_u32 v12, v7, v12, v8
.LBB4_16:
	s_load_b64 s[2:3], s[0:1], 0x10
	s_delay_alu instid0(VALU_DEP_1) | instskip(SKIP_1) | instid1(VALU_DEP_1)
	v_lshlrev_b64 v[6:7], 3, v[11:12]
	s_waitcnt lgkmcnt(0)
	v_add_co_u32 v8, vcc_lo, s2, v6
	s_delay_alu instid0(VALU_DEP_2)
	v_add_co_ci_u32_e32 v9, vcc_lo, s3, v7, vcc_lo
	global_load_b64 v[8:9], v[8:9], off
	s_waitcnt vmcnt(0)
	v_cmp_ne_u64_e32 vcc_lo, -1, v[8:9]
	s_and_b32 exec_lo, exec_lo, vcc_lo
	s_cbranch_execz .LBB4_24
; %bb.17:
	s_load_b128 s[0:3], s[0:1], 0x0
	v_cmp_ne_u32_e32 vcc_lo, 1, v0
	s_mul_i32 s8, s6, s5
	s_mul_hi_i32 s5, s6, s5
	s_mul_hi_u32 s9, s8, s7
	s_mul_i32 s5, s5, s7
	s_mul_i32 s6, s8, s7
	s_cbranch_vccnz .LBB4_19
; %bb.18:
	s_ashr_i32 s10, s7, 31
	v_mul_lo_u32 v0, s6, v2
	s_mul_i32 s10, s8, s10
	v_mad_u64_u32 v[10:11], null, s6, v1, 0
	s_add_i32 s10, s9, s10
	s_delay_alu instid0(SALU_CYCLE_1) | instskip(NEXT) | instid1(SALU_CYCLE_1)
	s_add_i32 s10, s10, s5
	v_mul_lo_u32 v2, s10, v1
	s_mov_b32 s10, 0
	s_delay_alu instid0(VALU_DEP_1)
	v_add3_u32 v11, v11, v0, v2
	s_branch .LBB4_20
.LBB4_19:
	s_mov_b32 s10, -1
                                        ; implicit-def: $vgpr10_vgpr11
.LBB4_20:
	s_delay_alu instid0(SALU_CYCLE_1)
	s_and_not1_b32 vcc_lo, exec_lo, s10
	s_cbranch_vccnz .LBB4_22
; %bb.21:
	s_ashr_i32 s7, s7, 31
	v_ashrrev_i32_e32 v2, 31, v3
	s_mul_i32 s8, s8, s7
	v_mad_u64_u32 v[0:1], null, s6, v3, v[8:9]
	s_add_i32 s7, s9, s8
	s_delay_alu instid0(VALU_DEP_2) | instskip(SKIP_4) | instid1(VALU_DEP_4)
	v_mul_lo_u32 v2, s6, v2
	s_add_i32 s7, s7, s5
	s_ashr_i32 s5, s4, 31
	v_mul_lo_u32 v3, s7, v3
	v_ashrrev_i32_e32 v5, 31, v4
	v_mad_u64_u32 v[10:11], null, v0, s4, 0
	s_delay_alu instid0(VALU_DEP_2) | instskip(NEXT) | instid1(VALU_DEP_4)
	v_dual_mov_b32 v9, v5 :: v_dual_mov_b32 v8, v4
	v_add3_u32 v1, v3, v1, v2
	v_mul_lo_u32 v2, v0, s5
	s_delay_alu instid0(VALU_DEP_2) | instskip(NEXT) | instid1(VALU_DEP_1)
	v_mul_lo_u32 v0, v1, s4
	v_add3_u32 v11, v11, v2, v0
.LBB4_22:
	s_delay_alu instid0(VALU_DEP_1) | instskip(SKIP_2) | instid1(VALU_DEP_2)
	v_lshlrev_b64 v[0:1], 3, v[10:11]
	v_lshlrev_b64 v[2:3], 3, v[8:9]
	s_waitcnt lgkmcnt(0)
	v_add_co_u32 v4, vcc_lo, s0, v0
	s_delay_alu instid0(VALU_DEP_3) | instskip(SKIP_2) | instid1(VALU_DEP_4)
	v_add_co_ci_u32_e32 v5, vcc_lo, s1, v1, vcc_lo
	v_add_co_u32 v0, vcc_lo, s2, v6
	v_add_co_ci_u32_e32 v1, vcc_lo, s3, v7, vcc_lo
	v_add_co_u32 v4, vcc_lo, v4, v2
	s_delay_alu instid0(VALU_DEP_4)
	v_add_co_ci_u32_e32 v5, vcc_lo, v5, v3, vcc_lo
	global_load_b64 v[6:7], v[0:1], off
	global_load_b64 v[2:3], v[4:5], off
	s_mov_b32 s0, 0
.LBB4_23:                               ; =>This Inner Loop Header: Depth=1
	s_waitcnt vmcnt(0)
	v_add_f64 v[0:1], v[2:3], v[6:7]
	global_atomic_cmpswap_b64 v[0:1], v[4:5], v[0:3], off glc
	s_waitcnt vmcnt(0)
	v_cmp_eq_u64_e32 vcc_lo, v[0:1], v[2:3]
	v_dual_mov_b32 v3, v1 :: v_dual_mov_b32 v2, v0
	s_or_b32 s0, vcc_lo, s0
	s_delay_alu instid0(SALU_CYCLE_1)
	s_and_not1_b32 exec_lo, exec_lo, s0
	s_cbranch_execnz .LBB4_23
.LBB4_24:
	s_endpgm
	.section	.rodata,"a",@progbits
	.p2align	6, 0x0
	.amdhsa_kernel _ZN2at6native12_GLOBAL__N_149max_pool3d_with_indices_backward_single_out_frameIdEEvPT_PKS3_PKliiiiiiiiib
		.amdhsa_group_segment_fixed_size 0
		.amdhsa_private_segment_fixed_size 0
		.amdhsa_kernarg_size 320
		.amdhsa_user_sgpr_count 13
		.amdhsa_user_sgpr_dispatch_ptr 0
		.amdhsa_user_sgpr_queue_ptr 0
		.amdhsa_user_sgpr_kernarg_segment_ptr 1
		.amdhsa_user_sgpr_dispatch_id 0
		.amdhsa_user_sgpr_private_segment_size 0
		.amdhsa_wavefront_size32 1
		.amdhsa_uses_dynamic_stack 0
		.amdhsa_enable_private_segment 0
		.amdhsa_system_sgpr_workgroup_id_x 1
		.amdhsa_system_sgpr_workgroup_id_y 1
		.amdhsa_system_sgpr_workgroup_id_z 1
		.amdhsa_system_sgpr_workgroup_info 0
		.amdhsa_system_vgpr_workitem_id 2
		.amdhsa_next_free_vgpr 16
		.amdhsa_next_free_sgpr 24
		.amdhsa_reserve_vcc 1
		.amdhsa_float_round_mode_32 0
		.amdhsa_float_round_mode_16_64 0
		.amdhsa_float_denorm_mode_32 3
		.amdhsa_float_denorm_mode_16_64 3
		.amdhsa_dx10_clamp 1
		.amdhsa_ieee_mode 1
		.amdhsa_fp16_overflow 0
		.amdhsa_workgroup_processor_mode 1
		.amdhsa_memory_ordered 1
		.amdhsa_forward_progress 0
		.amdhsa_shared_vgpr_count 0
		.amdhsa_exception_fp_ieee_invalid_op 0
		.amdhsa_exception_fp_denorm_src 0
		.amdhsa_exception_fp_ieee_div_zero 0
		.amdhsa_exception_fp_ieee_overflow 0
		.amdhsa_exception_fp_ieee_underflow 0
		.amdhsa_exception_fp_ieee_inexact 0
		.amdhsa_exception_int_div_zero 0
	.end_amdhsa_kernel
	.section	.text._ZN2at6native12_GLOBAL__N_149max_pool3d_with_indices_backward_single_out_frameIdEEvPT_PKS3_PKliiiiiiiiib,"axG",@progbits,_ZN2at6native12_GLOBAL__N_149max_pool3d_with_indices_backward_single_out_frameIdEEvPT_PKS3_PKliiiiiiiiib,comdat
.Lfunc_end4:
	.size	_ZN2at6native12_GLOBAL__N_149max_pool3d_with_indices_backward_single_out_frameIdEEvPT_PKS3_PKliiiiiiiiib, .Lfunc_end4-_ZN2at6native12_GLOBAL__N_149max_pool3d_with_indices_backward_single_out_frameIdEEvPT_PKS3_PKliiiiiiiiib
                                        ; -- End function
	.section	.AMDGPU.csdata,"",@progbits
; Kernel info:
; codeLenInByte = 2292
; NumSgprs: 26
; NumVgprs: 16
; ScratchSize: 0
; MemoryBound: 0
; FloatMode: 240
; IeeeMode: 1
; LDSByteSize: 0 bytes/workgroup (compile time only)
; SGPRBlocks: 3
; VGPRBlocks: 1
; NumSGPRsForWavesPerEU: 26
; NumVGPRsForWavesPerEU: 16
; Occupancy: 16
; WaveLimiterHint : 0
; COMPUTE_PGM_RSRC2:SCRATCH_EN: 0
; COMPUTE_PGM_RSRC2:USER_SGPR: 13
; COMPUTE_PGM_RSRC2:TRAP_HANDLER: 0
; COMPUTE_PGM_RSRC2:TGID_X_EN: 1
; COMPUTE_PGM_RSRC2:TGID_Y_EN: 1
; COMPUTE_PGM_RSRC2:TGID_Z_EN: 1
; COMPUTE_PGM_RSRC2:TIDIG_COMP_CNT: 2
	.section	.text._ZN2at6native12_GLOBAL__N_149max_pool3d_with_indices_backward_single_out_frameIfEEvPT_PKS3_PKliiiiiiiiib,"axG",@progbits,_ZN2at6native12_GLOBAL__N_149max_pool3d_with_indices_backward_single_out_frameIfEEvPT_PKS3_PKliiiiiiiiib,comdat
	.globl	_ZN2at6native12_GLOBAL__N_149max_pool3d_with_indices_backward_single_out_frameIfEEvPT_PKS3_PKliiiiiiiiib ; -- Begin function _ZN2at6native12_GLOBAL__N_149max_pool3d_with_indices_backward_single_out_frameIfEEvPT_PKS3_PKliiiiiiiiib
	.p2align	8
	.type	_ZN2at6native12_GLOBAL__N_149max_pool3d_with_indices_backward_single_out_frameIfEEvPT_PKS3_PKliiiiiiiiib,@function
_ZN2at6native12_GLOBAL__N_149max_pool3d_with_indices_backward_single_out_frameIfEEvPT_PKS3_PKliiiiiiiiib: ; @_ZN2at6native12_GLOBAL__N_149max_pool3d_with_indices_backward_single_out_frameIfEEvPT_PKS3_PKliiiiiiiiib
; %bb.0:
	s_clause 0x2
	s_load_b64 s[2:3], s[0:1], 0x38
	s_load_b64 s[16:17], s[0:1], 0x4c
	s_load_b256 s[4:11], s[0:1], 0x18
	v_bfe_u32 v1, v0, 20, 10
	s_waitcnt lgkmcnt(0)
	s_bitcmp1_b32 s3, 0
	s_cselect_b32 s3, -1, 0
	s_and_b32 s12, s17, 0xffff
	s_and_b32 vcc_lo, exec_lo, s3
	s_mul_i32 s15, s15, s12
	s_mov_b32 s12, s9
	v_add3_u32 v7, s15, s2, v1
	s_mov_b32 s2, -1
	s_cbranch_vccnz .LBB5_2
; %bb.1:
	v_cvt_f32_u32_e32 v1, s9
	s_sub_i32 s2, 0, s9
	v_mov_b32_e32 v6, 0
	s_delay_alu instid0(VALU_DEP_2) | instskip(SKIP_2) | instid1(VALU_DEP_1)
	v_rcp_iflag_f32_e32 v1, v1
	s_waitcnt_depctr 0xfff
	v_mul_f32_e32 v1, 0x4f7ffffe, v1
	v_cvt_u32_f32_e32 v1, v1
	s_delay_alu instid0(VALU_DEP_1) | instskip(SKIP_1) | instid1(VALU_DEP_1)
	v_mul_lo_u32 v2, s2, v1
	s_mov_b32 s2, 0
	v_mul_hi_u32 v2, v1, v2
	s_delay_alu instid0(VALU_DEP_1) | instskip(NEXT) | instid1(VALU_DEP_1)
	v_add_nc_u32_e32 v1, v1, v2
	v_mul_hi_u32 v1, v7, v1
	s_delay_alu instid0(VALU_DEP_1) | instskip(SKIP_1) | instid1(VALU_DEP_2)
	v_mul_lo_u32 v2, v1, s9
	v_add_nc_u32_e32 v3, 1, v1
	v_sub_nc_u32_e32 v2, v7, v2
	s_delay_alu instid0(VALU_DEP_1) | instskip(SKIP_1) | instid1(VALU_DEP_2)
	v_subrev_nc_u32_e32 v4, s9, v2
	v_cmp_le_u32_e32 vcc_lo, s9, v2
	v_dual_cndmask_b32 v1, v1, v3 :: v_dual_cndmask_b32 v2, v2, v4
	s_delay_alu instid0(VALU_DEP_1) | instskip(NEXT) | instid1(VALU_DEP_2)
	v_add_nc_u32_e32 v3, 1, v1
	v_cmp_le_u32_e32 vcc_lo, s9, v2
	s_delay_alu instid0(VALU_DEP_2) | instskip(NEXT) | instid1(VALU_DEP_1)
	v_cndmask_b32_e32 v1, v1, v3, vcc_lo
	v_mul_lo_u32 v2, v1, s9
	s_delay_alu instid0(VALU_DEP_1)
	v_sub_nc_u32_e32 v5, v7, v2
	v_mov_b32_e32 v2, v6
	s_branch .LBB5_3
.LBB5_2:
                                        ; implicit-def: $vgpr5_vgpr6
                                        ; implicit-def: $vgpr1_vgpr2
.LBB5_3:
	v_cndmask_b32_e64 v3, 0, 1, s2
	v_mov_b32_e32 v4, s2
	s_delay_alu instid0(VALU_DEP_2)
	v_cmp_ne_u32_e32 vcc_lo, 1, v3
	v_mov_b32_e32 v3, s2
	s_cbranch_vccnz .LBB5_8
; %bb.4:
	v_cvt_f32_u32_e32 v1, s4
	s_sub_i32 s2, 0, s4
	s_ashr_i32 s15, s9, 31
	s_mov_b32 s18, 0
	s_mov_b32 s19, s15
	v_rcp_iflag_f32_e32 v1, v1
	s_cmp_lg_u64 s[18:19], 0
	s_waitcnt_depctr 0xfff
	v_mul_f32_e32 v1, 0x4f7ffffe, v1
	s_delay_alu instid0(VALU_DEP_1) | instskip(NEXT) | instid1(VALU_DEP_1)
	v_cvt_u32_f32_e32 v1, v1
	v_mul_lo_u32 v2, s2, v1
	s_delay_alu instid0(VALU_DEP_1) | instskip(NEXT) | instid1(VALU_DEP_1)
	v_mul_hi_u32 v2, v1, v2
	v_add_nc_u32_e32 v1, v1, v2
	s_delay_alu instid0(VALU_DEP_1) | instskip(NEXT) | instid1(VALU_DEP_1)
	v_mul_hi_u32 v1, v7, v1
	v_mul_lo_u32 v2, v1, s4
	v_add_nc_u32_e32 v3, 1, v1
	s_delay_alu instid0(VALU_DEP_2) | instskip(NEXT) | instid1(VALU_DEP_1)
	v_sub_nc_u32_e32 v2, v7, v2
	v_subrev_nc_u32_e32 v4, s4, v2
	v_cmp_le_u32_e32 vcc_lo, s4, v2
	s_delay_alu instid0(VALU_DEP_4) | instskip(NEXT) | instid1(VALU_DEP_3)
	v_cndmask_b32_e32 v1, v1, v3, vcc_lo
	v_dual_cndmask_b32 v3, v2, v4 :: v_dual_mov_b32 v2, 0
	s_delay_alu instid0(VALU_DEP_2) | instskip(NEXT) | instid1(VALU_DEP_2)
	v_add_nc_u32_e32 v4, 1, v1
	v_cmp_le_u32_e32 vcc_lo, s4, v3
	s_delay_alu instid0(VALU_DEP_2)
	v_cndmask_b32_e32 v1, v1, v4, vcc_lo
	s_cbranch_scc0 .LBB5_13
; %bb.5:
	s_add_u32 s22, s12, s15
	s_mov_b32 s20, s15
	s_mov_b32 s21, s15
	s_addc_u32 s23, s15, s15
	s_delay_alu instid0(SALU_CYCLE_1) | instskip(NEXT) | instid1(SALU_CYCLE_1)
	s_xor_b64 s[22:23], s[22:23], s[20:21]
	v_cvt_f32_u32_e32 v3, s22
	v_cvt_f32_u32_e32 v4, s23
	s_sub_u32 s2, 0, s22
	s_subb_u32 s17, 0, s23
	s_delay_alu instid0(VALU_DEP_1) | instskip(NEXT) | instid1(VALU_DEP_1)
	v_fmamk_f32 v3, v4, 0x4f800000, v3
	v_rcp_f32_e32 v3, v3
	s_waitcnt_depctr 0xfff
	v_mul_f32_e32 v3, 0x5f7ffffc, v3
	s_delay_alu instid0(VALU_DEP_1) | instskip(NEXT) | instid1(VALU_DEP_1)
	v_mul_f32_e32 v4, 0x2f800000, v3
	v_trunc_f32_e32 v4, v4
	s_delay_alu instid0(VALU_DEP_1) | instskip(SKIP_1) | instid1(VALU_DEP_2)
	v_fmamk_f32 v3, v4, 0xcf800000, v3
	v_cvt_u32_f32_e32 v4, v4
	v_cvt_u32_f32_e32 v3, v3
	s_delay_alu instid0(VALU_DEP_2) | instskip(NEXT) | instid1(VALU_DEP_2)
	v_mul_lo_u32 v5, s2, v4
	v_mul_hi_u32 v6, s2, v3
	v_mul_lo_u32 v8, s17, v3
	s_delay_alu instid0(VALU_DEP_2) | instskip(SKIP_1) | instid1(VALU_DEP_2)
	v_add_nc_u32_e32 v5, v6, v5
	v_mul_lo_u32 v6, s2, v3
	v_add_nc_u32_e32 v5, v5, v8
	s_delay_alu instid0(VALU_DEP_2) | instskip(NEXT) | instid1(VALU_DEP_2)
	v_mul_hi_u32 v8, v3, v6
	v_mul_lo_u32 v9, v3, v5
	v_mul_hi_u32 v10, v3, v5
	v_mul_hi_u32 v11, v4, v6
	v_mul_lo_u32 v6, v4, v6
	v_mul_hi_u32 v12, v4, v5
	v_mul_lo_u32 v5, v4, v5
	v_add_co_u32 v8, vcc_lo, v8, v9
	v_add_co_ci_u32_e32 v9, vcc_lo, 0, v10, vcc_lo
	s_delay_alu instid0(VALU_DEP_2) | instskip(NEXT) | instid1(VALU_DEP_2)
	v_add_co_u32 v6, vcc_lo, v8, v6
	v_add_co_ci_u32_e32 v6, vcc_lo, v9, v11, vcc_lo
	v_add_co_ci_u32_e32 v8, vcc_lo, 0, v12, vcc_lo
	s_delay_alu instid0(VALU_DEP_2) | instskip(NEXT) | instid1(VALU_DEP_2)
	v_add_co_u32 v5, vcc_lo, v6, v5
	v_add_co_ci_u32_e32 v6, vcc_lo, 0, v8, vcc_lo
	s_delay_alu instid0(VALU_DEP_2) | instskip(NEXT) | instid1(VALU_DEP_2)
	v_add_co_u32 v3, vcc_lo, v3, v5
	v_add_co_ci_u32_e32 v4, vcc_lo, v4, v6, vcc_lo
	s_delay_alu instid0(VALU_DEP_2) | instskip(SKIP_1) | instid1(VALU_DEP_3)
	v_mul_hi_u32 v5, s2, v3
	v_mul_lo_u32 v8, s17, v3
	v_mul_lo_u32 v6, s2, v4
	s_delay_alu instid0(VALU_DEP_1) | instskip(SKIP_1) | instid1(VALU_DEP_2)
	v_add_nc_u32_e32 v5, v5, v6
	v_mul_lo_u32 v6, s2, v3
	v_add_nc_u32_e32 v5, v5, v8
	s_delay_alu instid0(VALU_DEP_2) | instskip(NEXT) | instid1(VALU_DEP_2)
	v_mul_hi_u32 v8, v3, v6
	v_mul_lo_u32 v9, v3, v5
	v_mul_hi_u32 v10, v3, v5
	v_mul_hi_u32 v11, v4, v6
	v_mul_lo_u32 v6, v4, v6
	v_mul_hi_u32 v12, v4, v5
	v_mul_lo_u32 v5, v4, v5
	v_add_co_u32 v8, vcc_lo, v8, v9
	v_add_co_ci_u32_e32 v9, vcc_lo, 0, v10, vcc_lo
	s_delay_alu instid0(VALU_DEP_2) | instskip(NEXT) | instid1(VALU_DEP_2)
	v_add_co_u32 v6, vcc_lo, v8, v6
	v_add_co_ci_u32_e32 v6, vcc_lo, v9, v11, vcc_lo
	v_add_co_ci_u32_e32 v8, vcc_lo, 0, v12, vcc_lo
	s_delay_alu instid0(VALU_DEP_2) | instskip(NEXT) | instid1(VALU_DEP_2)
	v_add_co_u32 v5, vcc_lo, v6, v5
	v_add_co_ci_u32_e32 v6, vcc_lo, 0, v8, vcc_lo
	s_delay_alu instid0(VALU_DEP_2) | instskip(NEXT) | instid1(VALU_DEP_2)
	v_add_co_u32 v8, vcc_lo, v3, v5
	v_add_co_ci_u32_e32 v10, vcc_lo, v4, v6, vcc_lo
	s_delay_alu instid0(VALU_DEP_2) | instskip(SKIP_1) | instid1(VALU_DEP_3)
	v_mul_hi_u32 v11, v1, v8
	v_mad_u64_u32 v[5:6], null, 0, v8, 0
	v_mad_u64_u32 v[3:4], null, v1, v10, 0
	;; [unrolled: 1-line block ×3, first 2 shown]
	s_delay_alu instid0(VALU_DEP_2) | instskip(NEXT) | instid1(VALU_DEP_3)
	v_add_co_u32 v3, vcc_lo, v11, v3
	v_add_co_ci_u32_e32 v4, vcc_lo, 0, v4, vcc_lo
	s_delay_alu instid0(VALU_DEP_2) | instskip(NEXT) | instid1(VALU_DEP_2)
	v_add_co_u32 v3, vcc_lo, v3, v5
	v_add_co_ci_u32_e32 v3, vcc_lo, v4, v6, vcc_lo
	v_add_co_ci_u32_e32 v4, vcc_lo, 0, v9, vcc_lo
	s_delay_alu instid0(VALU_DEP_2) | instskip(NEXT) | instid1(VALU_DEP_2)
	v_add_co_u32 v5, vcc_lo, v3, v8
	v_add_co_ci_u32_e32 v6, vcc_lo, 0, v4, vcc_lo
	s_delay_alu instid0(VALU_DEP_2) | instskip(SKIP_1) | instid1(VALU_DEP_3)
	v_mul_lo_u32 v8, s23, v5
	v_mad_u64_u32 v[3:4], null, s22, v5, 0
	v_mul_lo_u32 v9, s22, v6
	s_delay_alu instid0(VALU_DEP_2) | instskip(NEXT) | instid1(VALU_DEP_2)
	v_sub_co_u32 v3, vcc_lo, v1, v3
	v_add3_u32 v4, v4, v9, v8
	s_delay_alu instid0(VALU_DEP_1) | instskip(NEXT) | instid1(VALU_DEP_1)
	v_sub_nc_u32_e32 v8, 0, v4
	v_subrev_co_ci_u32_e64 v8, s2, s23, v8, vcc_lo
	v_add_co_u32 v9, s2, v5, 2
	s_delay_alu instid0(VALU_DEP_1) | instskip(SKIP_3) | instid1(VALU_DEP_3)
	v_add_co_ci_u32_e64 v10, s2, 0, v6, s2
	v_sub_co_u32 v11, s2, v3, s22
	v_sub_co_ci_u32_e32 v4, vcc_lo, 0, v4, vcc_lo
	v_subrev_co_ci_u32_e64 v8, s2, 0, v8, s2
	v_cmp_le_u32_e32 vcc_lo, s22, v11
	s_delay_alu instid0(VALU_DEP_3) | instskip(SKIP_1) | instid1(VALU_DEP_4)
	v_cmp_eq_u32_e64 s2, s23, v4
	v_cndmask_b32_e64 v11, 0, -1, vcc_lo
	v_cmp_le_u32_e32 vcc_lo, s23, v8
	v_cndmask_b32_e64 v12, 0, -1, vcc_lo
	v_cmp_le_u32_e32 vcc_lo, s22, v3
	;; [unrolled: 2-line block ×3, first 2 shown]
	v_cndmask_b32_e64 v13, 0, -1, vcc_lo
	v_cmp_eq_u32_e32 vcc_lo, s23, v8
	s_delay_alu instid0(VALU_DEP_2) | instskip(SKIP_3) | instid1(VALU_DEP_3)
	v_cndmask_b32_e64 v3, v13, v3, s2
	v_cndmask_b32_e32 v8, v12, v11, vcc_lo
	v_add_co_u32 v11, vcc_lo, v5, 1
	v_add_co_ci_u32_e32 v12, vcc_lo, 0, v6, vcc_lo
	v_cmp_ne_u32_e32 vcc_lo, 0, v8
	s_delay_alu instid0(VALU_DEP_2) | instskip(NEXT) | instid1(VALU_DEP_4)
	v_cndmask_b32_e32 v4, v12, v10, vcc_lo
	v_cndmask_b32_e32 v8, v11, v9, vcc_lo
	v_cmp_ne_u32_e32 vcc_lo, 0, v3
	s_delay_alu instid0(VALU_DEP_3) | instskip(NEXT) | instid1(VALU_DEP_3)
	v_cndmask_b32_e32 v3, v6, v4, vcc_lo
	v_cndmask_b32_e32 v4, v5, v8, vcc_lo
	s_delay_alu instid0(VALU_DEP_2) | instskip(NEXT) | instid1(VALU_DEP_2)
	v_xor_b32_e32 v5, s21, v3
	v_xor_b32_e32 v4, s20, v4
	s_delay_alu instid0(VALU_DEP_1) | instskip(NEXT) | instid1(VALU_DEP_3)
	v_sub_co_u32 v3, vcc_lo, v4, s20
	v_subrev_co_ci_u32_e32 v4, vcc_lo, s21, v5, vcc_lo
	s_and_not1_b32 vcc_lo, exec_lo, s18
	s_cbranch_vccnz .LBB5_7
.LBB5_6:
	v_cvt_f32_u32_e32 v3, s12
	s_sub_i32 s2, 0, s12
	s_delay_alu instid0(VALU_DEP_1) | instskip(SKIP_2) | instid1(VALU_DEP_1)
	v_rcp_iflag_f32_e32 v3, v3
	s_waitcnt_depctr 0xfff
	v_mul_f32_e32 v3, 0x4f7ffffe, v3
	v_cvt_u32_f32_e32 v3, v3
	s_delay_alu instid0(VALU_DEP_1) | instskip(NEXT) | instid1(VALU_DEP_1)
	v_mul_lo_u32 v4, s2, v3
	v_mul_hi_u32 v4, v3, v4
	s_delay_alu instid0(VALU_DEP_1) | instskip(NEXT) | instid1(VALU_DEP_1)
	v_add_nc_u32_e32 v3, v3, v4
	v_mul_hi_u32 v3, v1, v3
	s_delay_alu instid0(VALU_DEP_1) | instskip(SKIP_1) | instid1(VALU_DEP_2)
	v_mul_lo_u32 v4, v3, s12
	v_add_nc_u32_e32 v5, 1, v3
	v_sub_nc_u32_e32 v4, v1, v4
	s_delay_alu instid0(VALU_DEP_1) | instskip(SKIP_1) | instid1(VALU_DEP_2)
	v_subrev_nc_u32_e32 v6, s12, v4
	v_cmp_le_u32_e32 vcc_lo, s12, v4
	v_dual_cndmask_b32 v4, v4, v6 :: v_dual_cndmask_b32 v3, v3, v5
	s_delay_alu instid0(VALU_DEP_1) | instskip(NEXT) | instid1(VALU_DEP_2)
	v_cmp_le_u32_e32 vcc_lo, s12, v4
	v_dual_mov_b32 v4, 0 :: v_dual_add_nc_u32 v5, 1, v3
	s_delay_alu instid0(VALU_DEP_1)
	v_cndmask_b32_e32 v3, v3, v5, vcc_lo
.LBB5_7:
	s_delay_alu instid0(VALU_DEP_1) | instskip(NEXT) | instid1(VALU_DEP_2)
	v_mul_lo_u32 v4, v4, s12
	v_mul_lo_u32 v8, v3, s15
	v_mad_u64_u32 v[5:6], null, v3, s12, 0
	v_mul_lo_u32 v9, v1, s4
	s_delay_alu instid0(VALU_DEP_2) | instskip(NEXT) | instid1(VALU_DEP_3)
	v_add3_u32 v6, v6, v8, v4
	v_sub_co_u32 v5, vcc_lo, v1, v5
	s_delay_alu instid0(VALU_DEP_3) | instskip(NEXT) | instid1(VALU_DEP_3)
	v_sub_nc_u32_e32 v4, v7, v9
	v_sub_co_ci_u32_e32 v6, vcc_lo, 0, v6, vcc_lo
.LBB5_8:
	v_bfe_u32 v7, v0, 10, 10
	s_lshr_b32 s2, s16, 16
	s_xor_b32 s18, s3, -1
	s_ashr_i32 s15, s10, 31
	s_delay_alu instid0(VALU_DEP_1) | instskip(SKIP_3) | instid1(VALU_DEP_1)
	v_mad_u64_u32 v[9:10], null, s14, s2, v[7:8]
	v_mov_b32_e32 v10, 0
	s_mov_b32 s14, s10
	s_mov_b32 s2, exec_lo
	v_cmpx_gt_i64_e64 s[14:15], v[9:10]
	s_cbranch_execz .LBB5_24
; %bb.9:
	v_and_b32_e32 v0, 0x3ff, v0
	s_and_b32 s2, s16, 0xffff
	s_ashr_i32 s17, s11, 31
	s_mov_b32 s16, s11
	s_delay_alu instid0(VALU_DEP_1) | instskip(SKIP_1) | instid1(VALU_DEP_1)
	v_mad_u64_u32 v[11:12], null, s13, s2, v[0:1]
	v_mov_b32_e32 v12, v10
	v_cmp_gt_i64_e32 vcc_lo, s[16:17], v[11:12]
	s_and_b32 exec_lo, exec_lo, vcc_lo
	s_cbranch_execz .LBB5_24
; %bb.10:
	s_ashr_i32 s13, s9, 31
	v_cmp_gt_i32_e64 s2, s8, v3
	v_cmp_gt_i64_e32 vcc_lo, s[12:13], v[5:6]
	v_cmp_gt_i32_e64 s3, s4, v4
	s_delay_alu instid0(VALU_DEP_3)
	s_and_b32 s2, vcc_lo, s2
	s_delay_alu instid0(VALU_DEP_1) | instid1(SALU_CYCLE_1)
	s_and_b32 s2, s3, s2
	s_delay_alu instid0(SALU_CYCLE_1)
	s_and_b32 exec_lo, exec_lo, s2
	s_cbranch_execz .LBB5_24
; %bb.11:
	v_cndmask_b32_e64 v0, 0, 1, s18
	s_and_not1_b32 vcc_lo, exec_lo, s18
	s_cbranch_vccnz .LBB5_14
; %bb.12:
	v_mad_u64_u32 v[7:8], null, v1, s12, v[5:6]
	v_mul_lo_u32 v13, v1, s13
	v_mul_lo_u32 v14, v2, s12
	s_delay_alu instid0(VALU_DEP_3) | instskip(NEXT) | instid1(VALU_DEP_2)
	v_mul_lo_u32 v15, v7, s15
	v_add3_u32 v8, v14, v8, v13
	v_mad_u64_u32 v[13:14], null, v7, s14, v[9:10]
	s_delay_alu instid0(VALU_DEP_2) | instskip(NEXT) | instid1(VALU_DEP_1)
	v_mul_lo_u32 v7, v8, s14
	v_add3_u32 v7, v7, v14, v15
	s_delay_alu instid0(VALU_DEP_3) | instskip(NEXT) | instid1(VALU_DEP_2)
	v_mul_lo_u32 v14, v13, s17
	v_mul_lo_u32 v15, v7, s16
	v_mad_u64_u32 v[7:8], null, v13, s16, v[11:12]
	s_delay_alu instid0(VALU_DEP_1)
	v_add3_u32 v8, v15, v8, v14
	s_cbranch_execz .LBB5_15
	s_branch .LBB5_16
.LBB5_13:
                                        ; implicit-def: $vgpr3_vgpr4
	s_branch .LBB5_6
.LBB5_14:
                                        ; implicit-def: $vgpr7_vgpr8
.LBB5_15:
	v_mad_i64_i32 v[7:8], null, v3, s12, v[5:6]
	s_ashr_i32 s2, s4, 31
	s_delay_alu instid0(VALU_DEP_1) | instskip(NEXT) | instid1(VALU_DEP_2)
	v_mul_lo_u32 v13, v7, s15
	v_mul_lo_u32 v8, v8, s14
	v_mad_u64_u32 v[5:6], null, v7, s14, v[9:10]
	s_delay_alu instid0(VALU_DEP_1) | instskip(NEXT) | instid1(VALU_DEP_2)
	v_add3_u32 v8, v8, v6, v13
	v_mul_lo_u32 v9, v5, s17
	v_mad_u64_u32 v[6:7], null, v5, s16, v[11:12]
	s_delay_alu instid0(VALU_DEP_3) | instskip(NEXT) | instid1(VALU_DEP_1)
	v_mul_lo_u32 v5, v8, s16
	v_add3_u32 v7, v5, v7, v9
	v_ashrrev_i32_e32 v5, 31, v4
	s_delay_alu instid0(VALU_DEP_4) | instskip(NEXT) | instid1(VALU_DEP_3)
	v_mul_lo_u32 v9, v6, s2
	v_mul_lo_u32 v10, v7, s4
	s_delay_alu instid0(VALU_DEP_3) | instskip(NEXT) | instid1(VALU_DEP_1)
	v_mad_u64_u32 v[7:8], null, v6, s4, v[4:5]
	v_add3_u32 v8, v10, v8, v9
.LBB5_16:
	s_load_b64 s[2:3], s[0:1], 0x10
	s_delay_alu instid0(VALU_DEP_1) | instskip(SKIP_1) | instid1(VALU_DEP_1)
	v_lshlrev_b64 v[5:6], 3, v[7:8]
	s_waitcnt lgkmcnt(0)
	v_add_co_u32 v5, vcc_lo, s2, v5
	s_delay_alu instid0(VALU_DEP_2)
	v_add_co_ci_u32_e32 v6, vcc_lo, s3, v6, vcc_lo
	global_load_b64 v[5:6], v[5:6], off
	s_waitcnt vmcnt(0)
	v_cmp_ne_u64_e32 vcc_lo, -1, v[5:6]
	s_and_b32 exec_lo, exec_lo, vcc_lo
	s_cbranch_execz .LBB5_24
; %bb.17:
	s_load_b128 s[0:3], s[0:1], 0x0
	v_cmp_ne_u32_e32 vcc_lo, 1, v0
	s_mul_i32 s8, s6, s5
	s_mul_hi_i32 s5, s6, s5
	s_mul_hi_u32 s9, s8, s7
	s_mul_i32 s5, s5, s7
	s_mul_i32 s6, s8, s7
	s_cbranch_vccnz .LBB5_19
; %bb.18:
	s_ashr_i32 s10, s7, 31
	v_mul_lo_u32 v0, s6, v2
	s_mul_i32 s10, s8, s10
	v_mad_u64_u32 v[9:10], null, s6, v1, 0
	s_add_i32 s10, s9, s10
	s_delay_alu instid0(SALU_CYCLE_1) | instskip(NEXT) | instid1(SALU_CYCLE_1)
	s_add_i32 s10, s10, s5
	v_mul_lo_u32 v2, s10, v1
	s_mov_b32 s10, 0
	s_delay_alu instid0(VALU_DEP_1)
	v_add3_u32 v10, v10, v0, v2
	s_branch .LBB5_20
.LBB5_19:
	s_mov_b32 s10, -1
                                        ; implicit-def: $vgpr9_vgpr10
.LBB5_20:
	s_delay_alu instid0(SALU_CYCLE_1)
	s_and_not1_b32 vcc_lo, exec_lo, s10
	s_cbranch_vccnz .LBB5_22
; %bb.21:
	s_ashr_i32 s7, s7, 31
	v_ashrrev_i32_e32 v2, 31, v3
	s_mul_i32 s8, s8, s7
	v_mad_u64_u32 v[0:1], null, s6, v3, v[5:6]
	s_add_i32 s7, s9, s8
	s_delay_alu instid0(VALU_DEP_2) | instskip(SKIP_4) | instid1(VALU_DEP_4)
	v_mul_lo_u32 v2, s6, v2
	s_add_i32 s7, s7, s5
	s_ashr_i32 s5, s4, 31
	v_mul_lo_u32 v3, s7, v3
	v_ashrrev_i32_e32 v5, 31, v4
	v_mad_u64_u32 v[9:10], null, v0, s4, 0
	s_delay_alu instid0(VALU_DEP_2) | instskip(SKIP_3) | instid1(VALU_DEP_2)
	v_mov_b32_e32 v6, v5
	v_mov_b32_e32 v5, v4
	v_add3_u32 v1, v3, v1, v2
	v_mul_lo_u32 v2, v0, s5
	v_mul_lo_u32 v0, v1, s4
	s_delay_alu instid0(VALU_DEP_1)
	v_add3_u32 v10, v10, v2, v0
.LBB5_22:
	s_delay_alu instid0(VALU_DEP_1) | instskip(SKIP_3) | instid1(VALU_DEP_3)
	v_lshlrev_b64 v[0:1], 2, v[9:10]
	v_lshlrev_b64 v[2:3], 2, v[5:6]
	;; [unrolled: 1-line block ×3, first 2 shown]
	s_waitcnt lgkmcnt(0)
	v_add_co_u32 v0, vcc_lo, s0, v0
	s_delay_alu instid0(VALU_DEP_4) | instskip(NEXT) | instid1(VALU_DEP_3)
	v_add_co_ci_u32_e32 v1, vcc_lo, s1, v1, vcc_lo
	v_add_co_u32 v4, vcc_lo, s2, v4
	s_delay_alu instid0(VALU_DEP_4) | instskip(NEXT) | instid1(VALU_DEP_4)
	v_add_co_ci_u32_e32 v5, vcc_lo, s3, v5, vcc_lo
	v_add_co_u32 v0, vcc_lo, v0, v2
	s_delay_alu instid0(VALU_DEP_4)
	v_add_co_ci_u32_e32 v1, vcc_lo, v1, v3, vcc_lo
	global_load_b32 v4, v[4:5], off
	global_load_b32 v3, v[0:1], off
	s_mov_b32 s0, 0
.LBB5_23:                               ; =>This Inner Loop Header: Depth=1
	s_waitcnt vmcnt(0)
	v_add_f32_e32 v2, v3, v4
	global_atomic_cmpswap_b32 v2, v[0:1], v[2:3], off glc
	s_waitcnt vmcnt(0)
	v_cmp_eq_u32_e32 vcc_lo, v2, v3
	v_mov_b32_e32 v3, v2
	s_or_b32 s0, vcc_lo, s0
	s_delay_alu instid0(SALU_CYCLE_1)
	s_and_not1_b32 exec_lo, exec_lo, s0
	s_cbranch_execnz .LBB5_23
.LBB5_24:
	s_endpgm
	.section	.rodata,"a",@progbits
	.p2align	6, 0x0
	.amdhsa_kernel _ZN2at6native12_GLOBAL__N_149max_pool3d_with_indices_backward_single_out_frameIfEEvPT_PKS3_PKliiiiiiiiib
		.amdhsa_group_segment_fixed_size 0
		.amdhsa_private_segment_fixed_size 0
		.amdhsa_kernarg_size 320
		.amdhsa_user_sgpr_count 13
		.amdhsa_user_sgpr_dispatch_ptr 0
		.amdhsa_user_sgpr_queue_ptr 0
		.amdhsa_user_sgpr_kernarg_segment_ptr 1
		.amdhsa_user_sgpr_dispatch_id 0
		.amdhsa_user_sgpr_private_segment_size 0
		.amdhsa_wavefront_size32 1
		.amdhsa_uses_dynamic_stack 0
		.amdhsa_enable_private_segment 0
		.amdhsa_system_sgpr_workgroup_id_x 1
		.amdhsa_system_sgpr_workgroup_id_y 1
		.amdhsa_system_sgpr_workgroup_id_z 1
		.amdhsa_system_sgpr_workgroup_info 0
		.amdhsa_system_vgpr_workitem_id 2
		.amdhsa_next_free_vgpr 16
		.amdhsa_next_free_sgpr 24
		.amdhsa_reserve_vcc 1
		.amdhsa_float_round_mode_32 0
		.amdhsa_float_round_mode_16_64 0
		.amdhsa_float_denorm_mode_32 3
		.amdhsa_float_denorm_mode_16_64 3
		.amdhsa_dx10_clamp 1
		.amdhsa_ieee_mode 1
		.amdhsa_fp16_overflow 0
		.amdhsa_workgroup_processor_mode 1
		.amdhsa_memory_ordered 1
		.amdhsa_forward_progress 0
		.amdhsa_shared_vgpr_count 0
		.amdhsa_exception_fp_ieee_invalid_op 0
		.amdhsa_exception_fp_denorm_src 0
		.amdhsa_exception_fp_ieee_div_zero 0
		.amdhsa_exception_fp_ieee_overflow 0
		.amdhsa_exception_fp_ieee_underflow 0
		.amdhsa_exception_fp_ieee_inexact 0
		.amdhsa_exception_int_div_zero 0
	.end_amdhsa_kernel
	.section	.text._ZN2at6native12_GLOBAL__N_149max_pool3d_with_indices_backward_single_out_frameIfEEvPT_PKS3_PKliiiiiiiiib,"axG",@progbits,_ZN2at6native12_GLOBAL__N_149max_pool3d_with_indices_backward_single_out_frameIfEEvPT_PKS3_PKliiiiiiiiib,comdat
.Lfunc_end5:
	.size	_ZN2at6native12_GLOBAL__N_149max_pool3d_with_indices_backward_single_out_frameIfEEvPT_PKS3_PKliiiiiiiiib, .Lfunc_end5-_ZN2at6native12_GLOBAL__N_149max_pool3d_with_indices_backward_single_out_frameIfEEvPT_PKS3_PKliiiiiiiiib
                                        ; -- End function
	.section	.AMDGPU.csdata,"",@progbits
; Kernel info:
; codeLenInByte = 2296
; NumSgprs: 26
; NumVgprs: 16
; ScratchSize: 0
; MemoryBound: 0
; FloatMode: 240
; IeeeMode: 1
; LDSByteSize: 0 bytes/workgroup (compile time only)
; SGPRBlocks: 3
; VGPRBlocks: 1
; NumSGPRsForWavesPerEU: 26
; NumVGPRsForWavesPerEU: 16
; Occupancy: 16
; WaveLimiterHint : 0
; COMPUTE_PGM_RSRC2:SCRATCH_EN: 0
; COMPUTE_PGM_RSRC2:USER_SGPR: 13
; COMPUTE_PGM_RSRC2:TRAP_HANDLER: 0
; COMPUTE_PGM_RSRC2:TGID_X_EN: 1
; COMPUTE_PGM_RSRC2:TGID_Y_EN: 1
; COMPUTE_PGM_RSRC2:TGID_Z_EN: 1
; COMPUTE_PGM_RSRC2:TIDIG_COMP_CNT: 2
	.section	.text._ZN2at6native12_GLOBAL__N_149max_pool3d_with_indices_backward_single_out_frameIN3c104HalfEEEvPT_PKS5_PKliiiiiiiiib,"axG",@progbits,_ZN2at6native12_GLOBAL__N_149max_pool3d_with_indices_backward_single_out_frameIN3c104HalfEEEvPT_PKS5_PKliiiiiiiiib,comdat
	.globl	_ZN2at6native12_GLOBAL__N_149max_pool3d_with_indices_backward_single_out_frameIN3c104HalfEEEvPT_PKS5_PKliiiiiiiiib ; -- Begin function _ZN2at6native12_GLOBAL__N_149max_pool3d_with_indices_backward_single_out_frameIN3c104HalfEEEvPT_PKS5_PKliiiiiiiiib
	.p2align	8
	.type	_ZN2at6native12_GLOBAL__N_149max_pool3d_with_indices_backward_single_out_frameIN3c104HalfEEEvPT_PKS5_PKliiiiiiiiib,@function
_ZN2at6native12_GLOBAL__N_149max_pool3d_with_indices_backward_single_out_frameIN3c104HalfEEEvPT_PKS5_PKliiiiiiiiib: ; @_ZN2at6native12_GLOBAL__N_149max_pool3d_with_indices_backward_single_out_frameIN3c104HalfEEEvPT_PKS5_PKliiiiiiiiib
; %bb.0:
	s_clause 0x2
	s_load_b64 s[2:3], s[0:1], 0x38
	s_load_b64 s[16:17], s[0:1], 0x4c
	s_load_b256 s[4:11], s[0:1], 0x18
	v_bfe_u32 v1, v0, 20, 10
	s_waitcnt lgkmcnt(0)
	s_bitcmp1_b32 s3, 0
	s_cselect_b32 s3, -1, 0
	s_and_b32 s12, s17, 0xffff
	s_and_b32 vcc_lo, exec_lo, s3
	s_mul_i32 s15, s15, s12
	s_mov_b32 s12, s9
	v_add3_u32 v7, s15, s2, v1
	s_mov_b32 s2, -1
	s_cbranch_vccnz .LBB6_2
; %bb.1:
	v_cvt_f32_u32_e32 v1, s9
	s_sub_i32 s2, 0, s9
	v_mov_b32_e32 v6, 0
	s_delay_alu instid0(VALU_DEP_2) | instskip(SKIP_2) | instid1(VALU_DEP_1)
	v_rcp_iflag_f32_e32 v1, v1
	s_waitcnt_depctr 0xfff
	v_mul_f32_e32 v1, 0x4f7ffffe, v1
	v_cvt_u32_f32_e32 v1, v1
	s_delay_alu instid0(VALU_DEP_1) | instskip(SKIP_1) | instid1(VALU_DEP_1)
	v_mul_lo_u32 v2, s2, v1
	s_mov_b32 s2, 0
	v_mul_hi_u32 v2, v1, v2
	s_delay_alu instid0(VALU_DEP_1) | instskip(NEXT) | instid1(VALU_DEP_1)
	v_add_nc_u32_e32 v1, v1, v2
	v_mul_hi_u32 v1, v7, v1
	s_delay_alu instid0(VALU_DEP_1) | instskip(SKIP_1) | instid1(VALU_DEP_2)
	v_mul_lo_u32 v2, v1, s9
	v_add_nc_u32_e32 v3, 1, v1
	v_sub_nc_u32_e32 v2, v7, v2
	s_delay_alu instid0(VALU_DEP_1) | instskip(SKIP_1) | instid1(VALU_DEP_2)
	v_subrev_nc_u32_e32 v4, s9, v2
	v_cmp_le_u32_e32 vcc_lo, s9, v2
	v_dual_cndmask_b32 v1, v1, v3 :: v_dual_cndmask_b32 v2, v2, v4
	s_delay_alu instid0(VALU_DEP_1) | instskip(NEXT) | instid1(VALU_DEP_2)
	v_add_nc_u32_e32 v3, 1, v1
	v_cmp_le_u32_e32 vcc_lo, s9, v2
	s_delay_alu instid0(VALU_DEP_2) | instskip(NEXT) | instid1(VALU_DEP_1)
	v_cndmask_b32_e32 v1, v1, v3, vcc_lo
	v_mul_lo_u32 v2, v1, s9
	s_delay_alu instid0(VALU_DEP_1)
	v_sub_nc_u32_e32 v5, v7, v2
	v_mov_b32_e32 v2, v6
	s_branch .LBB6_3
.LBB6_2:
                                        ; implicit-def: $vgpr5_vgpr6
                                        ; implicit-def: $vgpr1_vgpr2
.LBB6_3:
	v_cndmask_b32_e64 v4, 0, 1, s2
	v_mov_b32_e32 v3, s2
	s_delay_alu instid0(VALU_DEP_2)
	v_cmp_ne_u32_e32 vcc_lo, 1, v4
	v_mov_b32_e32 v4, s2
	s_cbranch_vccnz .LBB6_8
; %bb.4:
	v_cvt_f32_u32_e32 v1, s4
	s_sub_i32 s2, 0, s4
	s_ashr_i32 s15, s9, 31
	s_mov_b32 s18, 0
	s_mov_b32 s19, s15
	v_rcp_iflag_f32_e32 v1, v1
	s_cmp_lg_u64 s[18:19], 0
	s_waitcnt_depctr 0xfff
	v_mul_f32_e32 v1, 0x4f7ffffe, v1
	s_delay_alu instid0(VALU_DEP_1) | instskip(NEXT) | instid1(VALU_DEP_1)
	v_cvt_u32_f32_e32 v1, v1
	v_mul_lo_u32 v2, s2, v1
	s_delay_alu instid0(VALU_DEP_1) | instskip(NEXT) | instid1(VALU_DEP_1)
	v_mul_hi_u32 v2, v1, v2
	v_add_nc_u32_e32 v1, v1, v2
	s_delay_alu instid0(VALU_DEP_1) | instskip(NEXT) | instid1(VALU_DEP_1)
	v_mul_hi_u32 v1, v7, v1
	v_mul_lo_u32 v2, v1, s4
	v_add_nc_u32_e32 v3, 1, v1
	s_delay_alu instid0(VALU_DEP_2) | instskip(NEXT) | instid1(VALU_DEP_1)
	v_sub_nc_u32_e32 v2, v7, v2
	v_subrev_nc_u32_e32 v4, s4, v2
	v_cmp_le_u32_e32 vcc_lo, s4, v2
	s_delay_alu instid0(VALU_DEP_4) | instskip(NEXT) | instid1(VALU_DEP_3)
	v_cndmask_b32_e32 v1, v1, v3, vcc_lo
	v_dual_cndmask_b32 v3, v2, v4 :: v_dual_mov_b32 v2, 0
	s_delay_alu instid0(VALU_DEP_2) | instskip(NEXT) | instid1(VALU_DEP_2)
	v_add_nc_u32_e32 v4, 1, v1
	v_cmp_le_u32_e32 vcc_lo, s4, v3
	s_delay_alu instid0(VALU_DEP_2)
	v_cndmask_b32_e32 v1, v1, v4, vcc_lo
	s_cbranch_scc0 .LBB6_13
; %bb.5:
	s_add_u32 s22, s12, s15
	s_mov_b32 s20, s15
	s_mov_b32 s21, s15
	s_addc_u32 s23, s15, s15
	s_delay_alu instid0(SALU_CYCLE_1) | instskip(NEXT) | instid1(SALU_CYCLE_1)
	s_xor_b64 s[22:23], s[22:23], s[20:21]
	v_cvt_f32_u32_e32 v3, s22
	v_cvt_f32_u32_e32 v4, s23
	s_sub_u32 s2, 0, s22
	s_subb_u32 s17, 0, s23
	s_delay_alu instid0(VALU_DEP_1) | instskip(NEXT) | instid1(VALU_DEP_1)
	v_fmamk_f32 v3, v4, 0x4f800000, v3
	v_rcp_f32_e32 v3, v3
	s_waitcnt_depctr 0xfff
	v_mul_f32_e32 v3, 0x5f7ffffc, v3
	s_delay_alu instid0(VALU_DEP_1) | instskip(NEXT) | instid1(VALU_DEP_1)
	v_mul_f32_e32 v4, 0x2f800000, v3
	v_trunc_f32_e32 v4, v4
	s_delay_alu instid0(VALU_DEP_1) | instskip(SKIP_1) | instid1(VALU_DEP_2)
	v_fmamk_f32 v3, v4, 0xcf800000, v3
	v_cvt_u32_f32_e32 v4, v4
	v_cvt_u32_f32_e32 v3, v3
	s_delay_alu instid0(VALU_DEP_2) | instskip(NEXT) | instid1(VALU_DEP_2)
	v_mul_lo_u32 v5, s2, v4
	v_mul_hi_u32 v6, s2, v3
	v_mul_lo_u32 v8, s17, v3
	s_delay_alu instid0(VALU_DEP_2) | instskip(SKIP_1) | instid1(VALU_DEP_2)
	v_add_nc_u32_e32 v5, v6, v5
	v_mul_lo_u32 v6, s2, v3
	v_add_nc_u32_e32 v5, v5, v8
	s_delay_alu instid0(VALU_DEP_2) | instskip(NEXT) | instid1(VALU_DEP_2)
	v_mul_hi_u32 v8, v3, v6
	v_mul_lo_u32 v9, v3, v5
	v_mul_hi_u32 v10, v3, v5
	v_mul_hi_u32 v11, v4, v6
	v_mul_lo_u32 v6, v4, v6
	v_mul_hi_u32 v12, v4, v5
	v_mul_lo_u32 v5, v4, v5
	v_add_co_u32 v8, vcc_lo, v8, v9
	v_add_co_ci_u32_e32 v9, vcc_lo, 0, v10, vcc_lo
	s_delay_alu instid0(VALU_DEP_2) | instskip(NEXT) | instid1(VALU_DEP_2)
	v_add_co_u32 v6, vcc_lo, v8, v6
	v_add_co_ci_u32_e32 v6, vcc_lo, v9, v11, vcc_lo
	v_add_co_ci_u32_e32 v8, vcc_lo, 0, v12, vcc_lo
	s_delay_alu instid0(VALU_DEP_2) | instskip(NEXT) | instid1(VALU_DEP_2)
	v_add_co_u32 v5, vcc_lo, v6, v5
	v_add_co_ci_u32_e32 v6, vcc_lo, 0, v8, vcc_lo
	s_delay_alu instid0(VALU_DEP_2) | instskip(NEXT) | instid1(VALU_DEP_2)
	v_add_co_u32 v3, vcc_lo, v3, v5
	v_add_co_ci_u32_e32 v4, vcc_lo, v4, v6, vcc_lo
	s_delay_alu instid0(VALU_DEP_2) | instskip(SKIP_1) | instid1(VALU_DEP_3)
	v_mul_hi_u32 v5, s2, v3
	v_mul_lo_u32 v8, s17, v3
	v_mul_lo_u32 v6, s2, v4
	s_delay_alu instid0(VALU_DEP_1) | instskip(SKIP_1) | instid1(VALU_DEP_2)
	v_add_nc_u32_e32 v5, v5, v6
	v_mul_lo_u32 v6, s2, v3
	v_add_nc_u32_e32 v5, v5, v8
	s_delay_alu instid0(VALU_DEP_2) | instskip(NEXT) | instid1(VALU_DEP_2)
	v_mul_hi_u32 v8, v3, v6
	v_mul_lo_u32 v9, v3, v5
	v_mul_hi_u32 v10, v3, v5
	v_mul_hi_u32 v11, v4, v6
	v_mul_lo_u32 v6, v4, v6
	v_mul_hi_u32 v12, v4, v5
	v_mul_lo_u32 v5, v4, v5
	v_add_co_u32 v8, vcc_lo, v8, v9
	v_add_co_ci_u32_e32 v9, vcc_lo, 0, v10, vcc_lo
	s_delay_alu instid0(VALU_DEP_2) | instskip(NEXT) | instid1(VALU_DEP_2)
	v_add_co_u32 v6, vcc_lo, v8, v6
	v_add_co_ci_u32_e32 v6, vcc_lo, v9, v11, vcc_lo
	v_add_co_ci_u32_e32 v8, vcc_lo, 0, v12, vcc_lo
	s_delay_alu instid0(VALU_DEP_2) | instskip(NEXT) | instid1(VALU_DEP_2)
	v_add_co_u32 v5, vcc_lo, v6, v5
	v_add_co_ci_u32_e32 v6, vcc_lo, 0, v8, vcc_lo
	s_delay_alu instid0(VALU_DEP_2) | instskip(NEXT) | instid1(VALU_DEP_2)
	v_add_co_u32 v8, vcc_lo, v3, v5
	v_add_co_ci_u32_e32 v10, vcc_lo, v4, v6, vcc_lo
	s_delay_alu instid0(VALU_DEP_2) | instskip(SKIP_1) | instid1(VALU_DEP_3)
	v_mul_hi_u32 v11, v1, v8
	v_mad_u64_u32 v[5:6], null, 0, v8, 0
	v_mad_u64_u32 v[3:4], null, v1, v10, 0
	;; [unrolled: 1-line block ×3, first 2 shown]
	s_delay_alu instid0(VALU_DEP_2) | instskip(NEXT) | instid1(VALU_DEP_3)
	v_add_co_u32 v3, vcc_lo, v11, v3
	v_add_co_ci_u32_e32 v4, vcc_lo, 0, v4, vcc_lo
	s_delay_alu instid0(VALU_DEP_2) | instskip(NEXT) | instid1(VALU_DEP_2)
	v_add_co_u32 v3, vcc_lo, v3, v5
	v_add_co_ci_u32_e32 v3, vcc_lo, v4, v6, vcc_lo
	v_add_co_ci_u32_e32 v4, vcc_lo, 0, v9, vcc_lo
	s_delay_alu instid0(VALU_DEP_2) | instskip(NEXT) | instid1(VALU_DEP_2)
	v_add_co_u32 v5, vcc_lo, v3, v8
	v_add_co_ci_u32_e32 v6, vcc_lo, 0, v4, vcc_lo
	s_delay_alu instid0(VALU_DEP_2) | instskip(SKIP_1) | instid1(VALU_DEP_3)
	v_mul_lo_u32 v8, s23, v5
	v_mad_u64_u32 v[3:4], null, s22, v5, 0
	v_mul_lo_u32 v9, s22, v6
	s_delay_alu instid0(VALU_DEP_2) | instskip(NEXT) | instid1(VALU_DEP_2)
	v_sub_co_u32 v3, vcc_lo, v1, v3
	v_add3_u32 v4, v4, v9, v8
	s_delay_alu instid0(VALU_DEP_1) | instskip(NEXT) | instid1(VALU_DEP_1)
	v_sub_nc_u32_e32 v8, 0, v4
	v_subrev_co_ci_u32_e64 v8, s2, s23, v8, vcc_lo
	v_add_co_u32 v9, s2, v5, 2
	s_delay_alu instid0(VALU_DEP_1) | instskip(SKIP_3) | instid1(VALU_DEP_3)
	v_add_co_ci_u32_e64 v10, s2, 0, v6, s2
	v_sub_co_u32 v11, s2, v3, s22
	v_sub_co_ci_u32_e32 v4, vcc_lo, 0, v4, vcc_lo
	v_subrev_co_ci_u32_e64 v8, s2, 0, v8, s2
	v_cmp_le_u32_e32 vcc_lo, s22, v11
	s_delay_alu instid0(VALU_DEP_3) | instskip(SKIP_1) | instid1(VALU_DEP_4)
	v_cmp_eq_u32_e64 s2, s23, v4
	v_cndmask_b32_e64 v11, 0, -1, vcc_lo
	v_cmp_le_u32_e32 vcc_lo, s23, v8
	v_cndmask_b32_e64 v12, 0, -1, vcc_lo
	v_cmp_le_u32_e32 vcc_lo, s22, v3
	v_cndmask_b32_e64 v3, 0, -1, vcc_lo
	v_cmp_le_u32_e32 vcc_lo, s23, v4
	v_cndmask_b32_e64 v13, 0, -1, vcc_lo
	v_cmp_eq_u32_e32 vcc_lo, s23, v8
	s_delay_alu instid0(VALU_DEP_2) | instskip(SKIP_3) | instid1(VALU_DEP_3)
	v_cndmask_b32_e64 v3, v13, v3, s2
	v_cndmask_b32_e32 v8, v12, v11, vcc_lo
	v_add_co_u32 v11, vcc_lo, v5, 1
	v_add_co_ci_u32_e32 v12, vcc_lo, 0, v6, vcc_lo
	v_cmp_ne_u32_e32 vcc_lo, 0, v8
	s_delay_alu instid0(VALU_DEP_2) | instskip(NEXT) | instid1(VALU_DEP_4)
	v_cndmask_b32_e32 v4, v12, v10, vcc_lo
	v_cndmask_b32_e32 v8, v11, v9, vcc_lo
	v_cmp_ne_u32_e32 vcc_lo, 0, v3
	s_delay_alu instid0(VALU_DEP_3) | instskip(NEXT) | instid1(VALU_DEP_3)
	v_cndmask_b32_e32 v3, v6, v4, vcc_lo
	v_cndmask_b32_e32 v4, v5, v8, vcc_lo
	s_delay_alu instid0(VALU_DEP_2) | instskip(NEXT) | instid1(VALU_DEP_2)
	v_xor_b32_e32 v5, s21, v3
	v_xor_b32_e32 v4, s20, v4
	s_delay_alu instid0(VALU_DEP_1) | instskip(NEXT) | instid1(VALU_DEP_3)
	v_sub_co_u32 v3, vcc_lo, v4, s20
	v_subrev_co_ci_u32_e32 v4, vcc_lo, s21, v5, vcc_lo
	s_and_not1_b32 vcc_lo, exec_lo, s18
	s_cbranch_vccnz .LBB6_7
.LBB6_6:
	v_cvt_f32_u32_e32 v3, s12
	s_sub_i32 s2, 0, s12
	s_delay_alu instid0(VALU_DEP_1) | instskip(SKIP_2) | instid1(VALU_DEP_1)
	v_rcp_iflag_f32_e32 v3, v3
	s_waitcnt_depctr 0xfff
	v_mul_f32_e32 v3, 0x4f7ffffe, v3
	v_cvt_u32_f32_e32 v3, v3
	s_delay_alu instid0(VALU_DEP_1) | instskip(NEXT) | instid1(VALU_DEP_1)
	v_mul_lo_u32 v4, s2, v3
	v_mul_hi_u32 v4, v3, v4
	s_delay_alu instid0(VALU_DEP_1) | instskip(NEXT) | instid1(VALU_DEP_1)
	v_add_nc_u32_e32 v3, v3, v4
	v_mul_hi_u32 v3, v1, v3
	s_delay_alu instid0(VALU_DEP_1) | instskip(SKIP_1) | instid1(VALU_DEP_2)
	v_mul_lo_u32 v4, v3, s12
	v_add_nc_u32_e32 v5, 1, v3
	v_sub_nc_u32_e32 v4, v1, v4
	s_delay_alu instid0(VALU_DEP_1) | instskip(SKIP_1) | instid1(VALU_DEP_2)
	v_subrev_nc_u32_e32 v6, s12, v4
	v_cmp_le_u32_e32 vcc_lo, s12, v4
	v_dual_cndmask_b32 v4, v4, v6 :: v_dual_cndmask_b32 v3, v3, v5
	s_delay_alu instid0(VALU_DEP_1) | instskip(NEXT) | instid1(VALU_DEP_2)
	v_cmp_le_u32_e32 vcc_lo, s12, v4
	v_dual_mov_b32 v4, 0 :: v_dual_add_nc_u32 v5, 1, v3
	s_delay_alu instid0(VALU_DEP_1)
	v_cndmask_b32_e32 v3, v3, v5, vcc_lo
.LBB6_7:
	s_delay_alu instid0(VALU_DEP_1) | instskip(NEXT) | instid1(VALU_DEP_2)
	v_mul_lo_u32 v4, v4, s12
	v_mul_lo_u32 v8, v3, s15
	v_mad_u64_u32 v[5:6], null, v3, s12, 0
	v_mul_lo_u32 v9, v1, s4
	s_delay_alu instid0(VALU_DEP_2) | instskip(NEXT) | instid1(VALU_DEP_3)
	v_add3_u32 v6, v6, v8, v4
	v_sub_co_u32 v5, vcc_lo, v1, v5
	s_delay_alu instid0(VALU_DEP_3) | instskip(NEXT) | instid1(VALU_DEP_3)
	v_sub_nc_u32_e32 v4, v7, v9
	v_sub_co_ci_u32_e32 v6, vcc_lo, 0, v6, vcc_lo
.LBB6_8:
	v_bfe_u32 v9, v0, 10, 10
	s_lshr_b32 s2, s16, 16
	s_xor_b32 s18, s3, -1
	s_ashr_i32 s15, s10, 31
	s_delay_alu instid0(VALU_DEP_1) | instskip(SKIP_3) | instid1(VALU_DEP_1)
	v_mad_u64_u32 v[7:8], null, s14, s2, v[9:10]
	v_mov_b32_e32 v8, 0
	s_mov_b32 s14, s10
	s_mov_b32 s2, exec_lo
	v_cmpx_gt_i64_e64 s[14:15], v[7:8]
	s_cbranch_execz .LBB6_32
; %bb.9:
	v_and_b32_e32 v0, 0x3ff, v0
	s_and_b32 s2, s16, 0xffff
	s_ashr_i32 s17, s11, 31
	s_mov_b32 s16, s11
	s_delay_alu instid0(VALU_DEP_1) | instskip(SKIP_1) | instid1(VALU_DEP_1)
	v_mad_u64_u32 v[9:10], null, s13, s2, v[0:1]
	v_mov_b32_e32 v10, v8
	v_cmp_gt_i64_e32 vcc_lo, s[16:17], v[9:10]
	s_and_b32 exec_lo, exec_lo, vcc_lo
	s_cbranch_execz .LBB6_32
; %bb.10:
	s_ashr_i32 s13, s9, 31
	v_cmp_gt_i32_e64 s2, s8, v3
	v_cmp_gt_i64_e32 vcc_lo, s[12:13], v[5:6]
	v_cmp_gt_i32_e64 s3, s4, v4
	s_delay_alu instid0(VALU_DEP_3)
	s_and_b32 s2, vcc_lo, s2
	s_delay_alu instid0(VALU_DEP_1) | instid1(SALU_CYCLE_1)
	s_and_b32 s2, s3, s2
	s_delay_alu instid0(SALU_CYCLE_1)
	s_and_b32 exec_lo, exec_lo, s2
	s_cbranch_execz .LBB6_32
; %bb.11:
	v_cndmask_b32_e64 v0, 0, 1, s18
	s_and_not1_b32 vcc_lo, exec_lo, s18
	s_cbranch_vccnz .LBB6_14
; %bb.12:
	v_mad_u64_u32 v[11:12], null, v1, s12, v[5:6]
	v_mul_lo_u32 v13, v1, s13
	v_mul_lo_u32 v14, v2, s12
	s_delay_alu instid0(VALU_DEP_3) | instskip(NEXT) | instid1(VALU_DEP_2)
	v_mul_lo_u32 v15, v11, s15
	v_add3_u32 v12, v14, v12, v13
	v_mad_u64_u32 v[13:14], null, v11, s14, v[7:8]
	s_delay_alu instid0(VALU_DEP_2) | instskip(NEXT) | instid1(VALU_DEP_1)
	v_mul_lo_u32 v11, v12, s14
	v_add3_u32 v11, v11, v14, v15
	s_delay_alu instid0(VALU_DEP_3) | instskip(NEXT) | instid1(VALU_DEP_2)
	v_mul_lo_u32 v14, v13, s17
	v_mul_lo_u32 v15, v11, s16
	v_mad_u64_u32 v[11:12], null, v13, s16, v[9:10]
	s_delay_alu instid0(VALU_DEP_1)
	v_add3_u32 v12, v15, v12, v14
	s_cbranch_execz .LBB6_15
	s_branch .LBB6_16
.LBB6_13:
                                        ; implicit-def: $vgpr3_vgpr4
	s_branch .LBB6_6
.LBB6_14:
                                        ; implicit-def: $vgpr11_vgpr12
.LBB6_15:
	v_mad_i64_i32 v[11:12], null, v3, s12, v[5:6]
	s_ashr_i32 s2, s4, 31
	s_delay_alu instid0(VALU_DEP_1) | instskip(NEXT) | instid1(VALU_DEP_2)
	v_mul_lo_u32 v13, v11, s15
	v_mul_lo_u32 v12, v12, s14
	v_mad_u64_u32 v[5:6], null, v11, s14, v[7:8]
	s_delay_alu instid0(VALU_DEP_1) | instskip(NEXT) | instid1(VALU_DEP_2)
	v_add3_u32 v8, v12, v6, v13
	v_mul_lo_u32 v11, v5, s17
	v_mad_u64_u32 v[6:7], null, v5, s16, v[9:10]
	s_delay_alu instid0(VALU_DEP_3) | instskip(NEXT) | instid1(VALU_DEP_2)
	v_mul_lo_u32 v5, v8, s16
	v_mul_lo_u32 v8, v6, s2
	s_delay_alu instid0(VALU_DEP_2) | instskip(SKIP_1) | instid1(VALU_DEP_2)
	v_add3_u32 v7, v5, v7, v11
	v_ashrrev_i32_e32 v5, 31, v4
	v_mul_lo_u32 v7, v7, s4
	s_delay_alu instid0(VALU_DEP_2) | instskip(NEXT) | instid1(VALU_DEP_1)
	v_mad_u64_u32 v[11:12], null, v6, s4, v[4:5]
	v_add3_u32 v12, v7, v12, v8
.LBB6_16:
	s_load_b64 s[2:3], s[0:1], 0x10
	s_delay_alu instid0(VALU_DEP_1) | instskip(SKIP_1) | instid1(VALU_DEP_1)
	v_lshlrev_b64 v[5:6], 3, v[11:12]
	s_waitcnt lgkmcnt(0)
	v_add_co_u32 v5, vcc_lo, s2, v5
	s_delay_alu instid0(VALU_DEP_2)
	v_add_co_ci_u32_e32 v6, vcc_lo, s3, v6, vcc_lo
	global_load_b64 v[8:9], v[5:6], off
	s_waitcnt vmcnt(0)
	v_cmp_ne_u64_e32 vcc_lo, -1, v[8:9]
	s_and_b32 exec_lo, exec_lo, vcc_lo
	s_cbranch_execz .LBB6_32
; %bb.17:
	s_load_b128 s[8:11], s[0:1], 0x0
	v_cmp_ne_u32_e32 vcc_lo, 1, v0
	v_lshlrev_b64 v[6:7], 1, v[11:12]
	s_mul_i32 s2, s6, s5
	s_mul_hi_i32 s3, s6, s5
	s_mov_b32 s0, -1
	s_mul_hi_u32 s6, s2, s7
	s_mul_i32 s3, s3, s7
	s_mul_i32 s5, s2, s7
	s_cbranch_vccnz .LBB6_25
; %bb.18:
	s_ashr_i32 s0, s7, 31
	v_mul_lo_u32 v0, s5, v2
	s_mul_i32 s0, s2, s0
	v_mad_u64_u32 v[10:11], null, s5, v1, 0
	s_add_i32 s0, s6, s0
	s_mov_b32 s12, 0
	s_add_i32 s0, s0, s3
	v_mov_b32_e32 v13, 0
	v_mul_lo_u32 v1, s0, v1
	s_delay_alu instid0(VALU_DEP_1) | instskip(NEXT) | instid1(VALU_DEP_1)
	v_add3_u32 v11, v11, v0, v1
	v_lshlrev_b64 v[0:1], 1, v[10:11]
	v_lshlrev_b64 v[10:11], 1, v[8:9]
	s_waitcnt lgkmcnt(0)
	s_delay_alu instid0(VALU_DEP_2) | instskip(NEXT) | instid1(VALU_DEP_3)
	v_add_co_u32 v0, vcc_lo, s8, v0
	v_add_co_ci_u32_e32 v1, vcc_lo, s9, v1, vcc_lo
	s_delay_alu instid0(VALU_DEP_2) | instskip(NEXT) | instid1(VALU_DEP_2)
	v_add_co_u32 v5, vcc_lo, v0, v10
	v_add_co_ci_u32_e32 v1, vcc_lo, v1, v11, vcc_lo
	v_add_co_u32 v10, vcc_lo, s10, v6
	v_add_co_ci_u32_e32 v11, vcc_lo, s11, v7, vcc_lo
	s_delay_alu instid0(VALU_DEP_4) | instskip(SKIP_3) | instid1(VALU_DEP_1)
	v_and_b32_e32 v0, -3, v5
	global_load_u16 v2, v[10:11], off
	global_load_b32 v11, v[0:1], off
	v_and_b32_e32 v12, 2, v5
	v_cmp_eq_u64_e32 vcc_lo, 0, v[12:13]
	v_cmp_ne_u32_e64 s0, 0, v12
	s_set_inst_prefetch_distance 0x1
	s_branch .LBB6_20
	.p2align	6
.LBB6_19:                               ;   in Loop: Header=BB6_20 Depth=1
	s_or_b32 exec_lo, exec_lo, s1
	global_atomic_cmpswap_b32 v5, v[0:1], v[10:11], off glc
	s_waitcnt vmcnt(0)
	v_cmp_eq_u32_e64 s1, v11, v5
	v_mov_b32_e32 v11, v5
	s_delay_alu instid0(VALU_DEP_2) | instskip(NEXT) | instid1(SALU_CYCLE_1)
	s_or_b32 s12, s1, s12
	s_and_not1_b32 exec_lo, exec_lo, s12
	s_cbranch_execz .LBB6_24
.LBB6_20:                               ; =>This Inner Loop Header: Depth=1
	s_waitcnt vmcnt(0)
	v_lshrrev_b32_e32 v5, 16, v11
	s_delay_alu instid0(VALU_DEP_1) | instskip(NEXT) | instid1(VALU_DEP_1)
	v_cndmask_b32_e32 v5, v5, v11, vcc_lo
	v_add_f16_e32 v5, v2, v5
	s_delay_alu instid0(VALU_DEP_1) | instskip(SKIP_1) | instid1(SALU_CYCLE_1)
	v_and_b32_e32 v5, 0xffff, v5
	s_and_saveexec_b32 s1, s0
	s_xor_b32 s1, exec_lo, s1
; %bb.21:                               ;   in Loop: Header=BB6_20 Depth=1
	v_and_b32_e32 v10, 0xffff, v11
	s_delay_alu instid0(VALU_DEP_1)
	v_lshl_or_b32 v10, v5, 16, v10
                                        ; implicit-def: $vgpr5
; %bb.22:                               ;   in Loop: Header=BB6_20 Depth=1
	s_and_not1_saveexec_b32 s1, s1
	s_cbranch_execz .LBB6_19
; %bb.23:                               ;   in Loop: Header=BB6_20 Depth=1
	v_and_or_b32 v10, 0xffff0000, v11, v5
	s_branch .LBB6_19
.LBB6_24:
	s_set_inst_prefetch_distance 0x2
	s_or_b32 exec_lo, exec_lo, s12
	s_mov_b32 s0, 0
.LBB6_25:
	s_delay_alu instid0(SALU_CYCLE_1)
	s_and_b32 vcc_lo, exec_lo, s0
	s_cbranch_vccz .LBB6_32
; %bb.26:
	s_ashr_i32 s0, s7, 31
	v_ashrrev_i32_e32 v2, 31, v3
	s_mul_i32 s2, s2, s0
	v_mad_u64_u32 v[0:1], null, s5, v3, v[8:9]
	s_add_i32 s0, s6, s2
	s_delay_alu instid0(VALU_DEP_2)
	v_mul_lo_u32 v2, s5, v2
	s_add_i32 s0, s0, s3
	s_mov_b32 s2, 0
	v_mul_lo_u32 v3, s0, v3
	s_ashr_i32 s0, s4, 31
	s_delay_alu instid0(VALU_DEP_3) | instid1(SALU_CYCLE_1)
	v_mul_lo_u32 v5, v0, s0
	s_delay_alu instid0(VALU_DEP_2) | instskip(SKIP_1) | instid1(VALU_DEP_2)
	v_add3_u32 v3, v3, v1, v2
	v_mad_u64_u32 v[1:2], null, v0, s4, 0
	v_mul_lo_u32 v0, v3, s4
	s_delay_alu instid0(VALU_DEP_1) | instskip(SKIP_1) | instid1(VALU_DEP_2)
	v_add3_u32 v2, v2, v5, v0
	v_ashrrev_i32_e32 v5, 31, v4
	v_lshlrev_b64 v[0:1], 1, v[1:2]
	s_delay_alu instid0(VALU_DEP_2) | instskip(SKIP_1) | instid1(VALU_DEP_2)
	v_lshlrev_b64 v[2:3], 1, v[4:5]
	s_waitcnt lgkmcnt(0)
	v_add_co_u32 v0, vcc_lo, s8, v0
	s_delay_alu instid0(VALU_DEP_3) | instskip(NEXT) | instid1(VALU_DEP_2)
	v_add_co_ci_u32_e32 v1, vcc_lo, s9, v1, vcc_lo
	v_add_co_u32 v5, vcc_lo, v0, v2
	s_delay_alu instid0(VALU_DEP_2) | instskip(SKIP_2) | instid1(VALU_DEP_4)
	v_add_co_ci_u32_e32 v1, vcc_lo, v1, v3, vcc_lo
	v_add_co_u32 v2, vcc_lo, s10, v6
	v_add_co_ci_u32_e32 v3, vcc_lo, s11, v7, vcc_lo
	v_and_b32_e32 v0, -3, v5
	global_load_u16 v4, v[2:3], off
	global_load_b32 v3, v[0:1], off
	v_dual_mov_b32 v6, 0 :: v_dual_and_b32 v5, 2, v5
	s_delay_alu instid0(VALU_DEP_1) | instskip(NEXT) | instid1(VALU_DEP_2)
	v_cmp_ne_u32_e64 s0, 0, v5
	v_cmp_eq_u64_e32 vcc_lo, 0, v[5:6]
	s_set_inst_prefetch_distance 0x1
	s_branch .LBB6_28
	.p2align	6
.LBB6_27:                               ;   in Loop: Header=BB6_28 Depth=1
	s_or_b32 exec_lo, exec_lo, s1
	global_atomic_cmpswap_b32 v2, v[0:1], v[2:3], off glc
	s_waitcnt vmcnt(0)
	v_cmp_eq_u32_e64 s1, v3, v2
	v_mov_b32_e32 v3, v2
	s_delay_alu instid0(VALU_DEP_2) | instskip(NEXT) | instid1(SALU_CYCLE_1)
	s_or_b32 s2, s1, s2
	s_and_not1_b32 exec_lo, exec_lo, s2
	s_cbranch_execz .LBB6_32
.LBB6_28:                               ; =>This Inner Loop Header: Depth=1
	s_waitcnt vmcnt(0)
	v_lshrrev_b32_e32 v2, 16, v3
	s_delay_alu instid0(VALU_DEP_1) | instskip(NEXT) | instid1(VALU_DEP_1)
	v_cndmask_b32_e32 v2, v2, v3, vcc_lo
	v_add_f16_e32 v2, v4, v2
	s_delay_alu instid0(VALU_DEP_1) | instskip(SKIP_1) | instid1(SALU_CYCLE_1)
	v_and_b32_e32 v5, 0xffff, v2
	s_and_saveexec_b32 s1, s0
	s_xor_b32 s1, exec_lo, s1
; %bb.29:                               ;   in Loop: Header=BB6_28 Depth=1
	v_and_b32_e32 v2, 0xffff, v3
	s_delay_alu instid0(VALU_DEP_1)
	v_lshl_or_b32 v2, v5, 16, v2
                                        ; implicit-def: $vgpr5
; %bb.30:                               ;   in Loop: Header=BB6_28 Depth=1
	s_and_not1_saveexec_b32 s1, s1
	s_cbranch_execz .LBB6_27
; %bb.31:                               ;   in Loop: Header=BB6_28 Depth=1
	v_and_or_b32 v2, 0xffff0000, v3, v5
	s_branch .LBB6_27
.LBB6_32:
	s_set_inst_prefetch_distance 0x2
	s_endpgm
	.section	.rodata,"a",@progbits
	.p2align	6, 0x0
	.amdhsa_kernel _ZN2at6native12_GLOBAL__N_149max_pool3d_with_indices_backward_single_out_frameIN3c104HalfEEEvPT_PKS5_PKliiiiiiiiib
		.amdhsa_group_segment_fixed_size 0
		.amdhsa_private_segment_fixed_size 0
		.amdhsa_kernarg_size 320
		.amdhsa_user_sgpr_count 13
		.amdhsa_user_sgpr_dispatch_ptr 0
		.amdhsa_user_sgpr_queue_ptr 0
		.amdhsa_user_sgpr_kernarg_segment_ptr 1
		.amdhsa_user_sgpr_dispatch_id 0
		.amdhsa_user_sgpr_private_segment_size 0
		.amdhsa_wavefront_size32 1
		.amdhsa_uses_dynamic_stack 0
		.amdhsa_enable_private_segment 0
		.amdhsa_system_sgpr_workgroup_id_x 1
		.amdhsa_system_sgpr_workgroup_id_y 1
		.amdhsa_system_sgpr_workgroup_id_z 1
		.amdhsa_system_sgpr_workgroup_info 0
		.amdhsa_system_vgpr_workitem_id 2
		.amdhsa_next_free_vgpr 16
		.amdhsa_next_free_sgpr 24
		.amdhsa_reserve_vcc 1
		.amdhsa_float_round_mode_32 0
		.amdhsa_float_round_mode_16_64 0
		.amdhsa_float_denorm_mode_32 3
		.amdhsa_float_denorm_mode_16_64 3
		.amdhsa_dx10_clamp 1
		.amdhsa_ieee_mode 1
		.amdhsa_fp16_overflow 0
		.amdhsa_workgroup_processor_mode 1
		.amdhsa_memory_ordered 1
		.amdhsa_forward_progress 0
		.amdhsa_shared_vgpr_count 0
		.amdhsa_exception_fp_ieee_invalid_op 0
		.amdhsa_exception_fp_denorm_src 0
		.amdhsa_exception_fp_ieee_div_zero 0
		.amdhsa_exception_fp_ieee_overflow 0
		.amdhsa_exception_fp_ieee_underflow 0
		.amdhsa_exception_fp_ieee_inexact 0
		.amdhsa_exception_int_div_zero 0
	.end_amdhsa_kernel
	.section	.text._ZN2at6native12_GLOBAL__N_149max_pool3d_with_indices_backward_single_out_frameIN3c104HalfEEEvPT_PKS5_PKliiiiiiiiib,"axG",@progbits,_ZN2at6native12_GLOBAL__N_149max_pool3d_with_indices_backward_single_out_frameIN3c104HalfEEEvPT_PKS5_PKliiiiiiiiib,comdat
.Lfunc_end6:
	.size	_ZN2at6native12_GLOBAL__N_149max_pool3d_with_indices_backward_single_out_frameIN3c104HalfEEEvPT_PKS5_PKliiiiiiiiib, .Lfunc_end6-_ZN2at6native12_GLOBAL__N_149max_pool3d_with_indices_backward_single_out_frameIN3c104HalfEEEvPT_PKS5_PKliiiiiiiiib
                                        ; -- End function
	.section	.AMDGPU.csdata,"",@progbits
; Kernel info:
; codeLenInByte = 2660
; NumSgprs: 26
; NumVgprs: 16
; ScratchSize: 0
; MemoryBound: 0
; FloatMode: 240
; IeeeMode: 1
; LDSByteSize: 0 bytes/workgroup (compile time only)
; SGPRBlocks: 3
; VGPRBlocks: 1
; NumSGPRsForWavesPerEU: 26
; NumVGPRsForWavesPerEU: 16
; Occupancy: 16
; WaveLimiterHint : 1
; COMPUTE_PGM_RSRC2:SCRATCH_EN: 0
; COMPUTE_PGM_RSRC2:USER_SGPR: 13
; COMPUTE_PGM_RSRC2:TRAP_HANDLER: 0
; COMPUTE_PGM_RSRC2:TGID_X_EN: 1
; COMPUTE_PGM_RSRC2:TGID_Y_EN: 1
; COMPUTE_PGM_RSRC2:TGID_Z_EN: 1
; COMPUTE_PGM_RSRC2:TIDIG_COMP_CNT: 2
	.section	.text._ZN2at6native12_GLOBAL__N_149max_pool3d_with_indices_backward_single_out_frameIN3c108BFloat16EEEvPT_PKS5_PKliiiiiiiiib,"axG",@progbits,_ZN2at6native12_GLOBAL__N_149max_pool3d_with_indices_backward_single_out_frameIN3c108BFloat16EEEvPT_PKS5_PKliiiiiiiiib,comdat
	.globl	_ZN2at6native12_GLOBAL__N_149max_pool3d_with_indices_backward_single_out_frameIN3c108BFloat16EEEvPT_PKS5_PKliiiiiiiiib ; -- Begin function _ZN2at6native12_GLOBAL__N_149max_pool3d_with_indices_backward_single_out_frameIN3c108BFloat16EEEvPT_PKS5_PKliiiiiiiiib
	.p2align	8
	.type	_ZN2at6native12_GLOBAL__N_149max_pool3d_with_indices_backward_single_out_frameIN3c108BFloat16EEEvPT_PKS5_PKliiiiiiiiib,@function
_ZN2at6native12_GLOBAL__N_149max_pool3d_with_indices_backward_single_out_frameIN3c108BFloat16EEEvPT_PKS5_PKliiiiiiiiib: ; @_ZN2at6native12_GLOBAL__N_149max_pool3d_with_indices_backward_single_out_frameIN3c108BFloat16EEEvPT_PKS5_PKliiiiiiiiib
; %bb.0:
	s_clause 0x2
	s_load_b64 s[2:3], s[0:1], 0x38
	s_load_b64 s[16:17], s[0:1], 0x4c
	s_load_b256 s[4:11], s[0:1], 0x18
	v_bfe_u32 v1, v0, 20, 10
	s_waitcnt lgkmcnt(0)
	s_bitcmp1_b32 s3, 0
	s_cselect_b32 s3, -1, 0
	s_and_b32 s12, s17, 0xffff
	s_and_b32 vcc_lo, exec_lo, s3
	s_mul_i32 s15, s15, s12
	s_mov_b32 s12, s9
	v_add3_u32 v7, s15, s2, v1
	s_mov_b32 s2, -1
	s_cbranch_vccnz .LBB7_2
; %bb.1:
	v_cvt_f32_u32_e32 v1, s9
	s_sub_i32 s2, 0, s9
	v_mov_b32_e32 v6, 0
	s_delay_alu instid0(VALU_DEP_2) | instskip(SKIP_2) | instid1(VALU_DEP_1)
	v_rcp_iflag_f32_e32 v1, v1
	s_waitcnt_depctr 0xfff
	v_mul_f32_e32 v1, 0x4f7ffffe, v1
	v_cvt_u32_f32_e32 v1, v1
	s_delay_alu instid0(VALU_DEP_1) | instskip(SKIP_1) | instid1(VALU_DEP_1)
	v_mul_lo_u32 v2, s2, v1
	s_mov_b32 s2, 0
	v_mul_hi_u32 v2, v1, v2
	s_delay_alu instid0(VALU_DEP_1) | instskip(NEXT) | instid1(VALU_DEP_1)
	v_add_nc_u32_e32 v1, v1, v2
	v_mul_hi_u32 v1, v7, v1
	s_delay_alu instid0(VALU_DEP_1) | instskip(SKIP_1) | instid1(VALU_DEP_2)
	v_mul_lo_u32 v2, v1, s9
	v_add_nc_u32_e32 v3, 1, v1
	v_sub_nc_u32_e32 v2, v7, v2
	s_delay_alu instid0(VALU_DEP_1) | instskip(SKIP_1) | instid1(VALU_DEP_2)
	v_subrev_nc_u32_e32 v4, s9, v2
	v_cmp_le_u32_e32 vcc_lo, s9, v2
	v_dual_cndmask_b32 v1, v1, v3 :: v_dual_cndmask_b32 v2, v2, v4
	s_delay_alu instid0(VALU_DEP_1) | instskip(NEXT) | instid1(VALU_DEP_2)
	v_add_nc_u32_e32 v3, 1, v1
	v_cmp_le_u32_e32 vcc_lo, s9, v2
	s_delay_alu instid0(VALU_DEP_2) | instskip(NEXT) | instid1(VALU_DEP_1)
	v_cndmask_b32_e32 v1, v1, v3, vcc_lo
	v_mul_lo_u32 v2, v1, s9
	s_delay_alu instid0(VALU_DEP_1)
	v_sub_nc_u32_e32 v5, v7, v2
	v_mov_b32_e32 v2, v6
	s_branch .LBB7_3
.LBB7_2:
                                        ; implicit-def: $vgpr5_vgpr6
                                        ; implicit-def: $vgpr1_vgpr2
.LBB7_3:
	v_cndmask_b32_e64 v4, 0, 1, s2
	v_mov_b32_e32 v3, s2
	s_delay_alu instid0(VALU_DEP_2)
	v_cmp_ne_u32_e32 vcc_lo, 1, v4
	v_mov_b32_e32 v4, s2
	s_cbranch_vccnz .LBB7_8
; %bb.4:
	v_cvt_f32_u32_e32 v1, s4
	s_sub_i32 s2, 0, s4
	s_ashr_i32 s15, s9, 31
	s_mov_b32 s18, 0
	s_mov_b32 s19, s15
	v_rcp_iflag_f32_e32 v1, v1
	s_cmp_lg_u64 s[18:19], 0
	s_waitcnt_depctr 0xfff
	v_mul_f32_e32 v1, 0x4f7ffffe, v1
	s_delay_alu instid0(VALU_DEP_1) | instskip(NEXT) | instid1(VALU_DEP_1)
	v_cvt_u32_f32_e32 v1, v1
	v_mul_lo_u32 v2, s2, v1
	s_delay_alu instid0(VALU_DEP_1) | instskip(NEXT) | instid1(VALU_DEP_1)
	v_mul_hi_u32 v2, v1, v2
	v_add_nc_u32_e32 v1, v1, v2
	s_delay_alu instid0(VALU_DEP_1) | instskip(NEXT) | instid1(VALU_DEP_1)
	v_mul_hi_u32 v1, v7, v1
	v_mul_lo_u32 v2, v1, s4
	v_add_nc_u32_e32 v3, 1, v1
	s_delay_alu instid0(VALU_DEP_2) | instskip(NEXT) | instid1(VALU_DEP_1)
	v_sub_nc_u32_e32 v2, v7, v2
	v_subrev_nc_u32_e32 v4, s4, v2
	v_cmp_le_u32_e32 vcc_lo, s4, v2
	s_delay_alu instid0(VALU_DEP_4) | instskip(NEXT) | instid1(VALU_DEP_3)
	v_cndmask_b32_e32 v1, v1, v3, vcc_lo
	v_dual_cndmask_b32 v3, v2, v4 :: v_dual_mov_b32 v2, 0
	s_delay_alu instid0(VALU_DEP_2) | instskip(NEXT) | instid1(VALU_DEP_2)
	v_add_nc_u32_e32 v4, 1, v1
	v_cmp_le_u32_e32 vcc_lo, s4, v3
	s_delay_alu instid0(VALU_DEP_2)
	v_cndmask_b32_e32 v1, v1, v4, vcc_lo
	s_cbranch_scc0 .LBB7_13
; %bb.5:
	s_add_u32 s22, s12, s15
	s_mov_b32 s20, s15
	s_mov_b32 s21, s15
	s_addc_u32 s23, s15, s15
	s_delay_alu instid0(SALU_CYCLE_1) | instskip(NEXT) | instid1(SALU_CYCLE_1)
	s_xor_b64 s[22:23], s[22:23], s[20:21]
	v_cvt_f32_u32_e32 v3, s22
	v_cvt_f32_u32_e32 v4, s23
	s_sub_u32 s2, 0, s22
	s_subb_u32 s17, 0, s23
	s_delay_alu instid0(VALU_DEP_1) | instskip(NEXT) | instid1(VALU_DEP_1)
	v_fmamk_f32 v3, v4, 0x4f800000, v3
	v_rcp_f32_e32 v3, v3
	s_waitcnt_depctr 0xfff
	v_mul_f32_e32 v3, 0x5f7ffffc, v3
	s_delay_alu instid0(VALU_DEP_1) | instskip(NEXT) | instid1(VALU_DEP_1)
	v_mul_f32_e32 v4, 0x2f800000, v3
	v_trunc_f32_e32 v4, v4
	s_delay_alu instid0(VALU_DEP_1) | instskip(SKIP_1) | instid1(VALU_DEP_2)
	v_fmamk_f32 v3, v4, 0xcf800000, v3
	v_cvt_u32_f32_e32 v4, v4
	v_cvt_u32_f32_e32 v3, v3
	s_delay_alu instid0(VALU_DEP_2) | instskip(NEXT) | instid1(VALU_DEP_2)
	v_mul_lo_u32 v5, s2, v4
	v_mul_hi_u32 v6, s2, v3
	v_mul_lo_u32 v8, s17, v3
	s_delay_alu instid0(VALU_DEP_2) | instskip(SKIP_1) | instid1(VALU_DEP_2)
	v_add_nc_u32_e32 v5, v6, v5
	v_mul_lo_u32 v6, s2, v3
	v_add_nc_u32_e32 v5, v5, v8
	s_delay_alu instid0(VALU_DEP_2) | instskip(NEXT) | instid1(VALU_DEP_2)
	v_mul_hi_u32 v8, v3, v6
	v_mul_lo_u32 v9, v3, v5
	v_mul_hi_u32 v10, v3, v5
	v_mul_hi_u32 v11, v4, v6
	v_mul_lo_u32 v6, v4, v6
	v_mul_hi_u32 v12, v4, v5
	v_mul_lo_u32 v5, v4, v5
	v_add_co_u32 v8, vcc_lo, v8, v9
	v_add_co_ci_u32_e32 v9, vcc_lo, 0, v10, vcc_lo
	s_delay_alu instid0(VALU_DEP_2) | instskip(NEXT) | instid1(VALU_DEP_2)
	v_add_co_u32 v6, vcc_lo, v8, v6
	v_add_co_ci_u32_e32 v6, vcc_lo, v9, v11, vcc_lo
	v_add_co_ci_u32_e32 v8, vcc_lo, 0, v12, vcc_lo
	s_delay_alu instid0(VALU_DEP_2) | instskip(NEXT) | instid1(VALU_DEP_2)
	v_add_co_u32 v5, vcc_lo, v6, v5
	v_add_co_ci_u32_e32 v6, vcc_lo, 0, v8, vcc_lo
	s_delay_alu instid0(VALU_DEP_2) | instskip(NEXT) | instid1(VALU_DEP_2)
	v_add_co_u32 v3, vcc_lo, v3, v5
	v_add_co_ci_u32_e32 v4, vcc_lo, v4, v6, vcc_lo
	s_delay_alu instid0(VALU_DEP_2) | instskip(SKIP_1) | instid1(VALU_DEP_3)
	v_mul_hi_u32 v5, s2, v3
	v_mul_lo_u32 v8, s17, v3
	v_mul_lo_u32 v6, s2, v4
	s_delay_alu instid0(VALU_DEP_1) | instskip(SKIP_1) | instid1(VALU_DEP_2)
	v_add_nc_u32_e32 v5, v5, v6
	v_mul_lo_u32 v6, s2, v3
	v_add_nc_u32_e32 v5, v5, v8
	s_delay_alu instid0(VALU_DEP_2) | instskip(NEXT) | instid1(VALU_DEP_2)
	v_mul_hi_u32 v8, v3, v6
	v_mul_lo_u32 v9, v3, v5
	v_mul_hi_u32 v10, v3, v5
	v_mul_hi_u32 v11, v4, v6
	v_mul_lo_u32 v6, v4, v6
	v_mul_hi_u32 v12, v4, v5
	v_mul_lo_u32 v5, v4, v5
	v_add_co_u32 v8, vcc_lo, v8, v9
	v_add_co_ci_u32_e32 v9, vcc_lo, 0, v10, vcc_lo
	s_delay_alu instid0(VALU_DEP_2) | instskip(NEXT) | instid1(VALU_DEP_2)
	v_add_co_u32 v6, vcc_lo, v8, v6
	v_add_co_ci_u32_e32 v6, vcc_lo, v9, v11, vcc_lo
	v_add_co_ci_u32_e32 v8, vcc_lo, 0, v12, vcc_lo
	s_delay_alu instid0(VALU_DEP_2) | instskip(NEXT) | instid1(VALU_DEP_2)
	v_add_co_u32 v5, vcc_lo, v6, v5
	v_add_co_ci_u32_e32 v6, vcc_lo, 0, v8, vcc_lo
	s_delay_alu instid0(VALU_DEP_2) | instskip(NEXT) | instid1(VALU_DEP_2)
	v_add_co_u32 v8, vcc_lo, v3, v5
	v_add_co_ci_u32_e32 v10, vcc_lo, v4, v6, vcc_lo
	s_delay_alu instid0(VALU_DEP_2) | instskip(SKIP_1) | instid1(VALU_DEP_3)
	v_mul_hi_u32 v11, v1, v8
	v_mad_u64_u32 v[5:6], null, 0, v8, 0
	v_mad_u64_u32 v[3:4], null, v1, v10, 0
	;; [unrolled: 1-line block ×3, first 2 shown]
	s_delay_alu instid0(VALU_DEP_2) | instskip(NEXT) | instid1(VALU_DEP_3)
	v_add_co_u32 v3, vcc_lo, v11, v3
	v_add_co_ci_u32_e32 v4, vcc_lo, 0, v4, vcc_lo
	s_delay_alu instid0(VALU_DEP_2) | instskip(NEXT) | instid1(VALU_DEP_2)
	v_add_co_u32 v3, vcc_lo, v3, v5
	v_add_co_ci_u32_e32 v3, vcc_lo, v4, v6, vcc_lo
	v_add_co_ci_u32_e32 v4, vcc_lo, 0, v9, vcc_lo
	s_delay_alu instid0(VALU_DEP_2) | instskip(NEXT) | instid1(VALU_DEP_2)
	v_add_co_u32 v5, vcc_lo, v3, v8
	v_add_co_ci_u32_e32 v6, vcc_lo, 0, v4, vcc_lo
	s_delay_alu instid0(VALU_DEP_2) | instskip(SKIP_1) | instid1(VALU_DEP_3)
	v_mul_lo_u32 v8, s23, v5
	v_mad_u64_u32 v[3:4], null, s22, v5, 0
	v_mul_lo_u32 v9, s22, v6
	s_delay_alu instid0(VALU_DEP_2) | instskip(NEXT) | instid1(VALU_DEP_2)
	v_sub_co_u32 v3, vcc_lo, v1, v3
	v_add3_u32 v4, v4, v9, v8
	s_delay_alu instid0(VALU_DEP_1) | instskip(NEXT) | instid1(VALU_DEP_1)
	v_sub_nc_u32_e32 v8, 0, v4
	v_subrev_co_ci_u32_e64 v8, s2, s23, v8, vcc_lo
	v_add_co_u32 v9, s2, v5, 2
	s_delay_alu instid0(VALU_DEP_1) | instskip(SKIP_3) | instid1(VALU_DEP_3)
	v_add_co_ci_u32_e64 v10, s2, 0, v6, s2
	v_sub_co_u32 v11, s2, v3, s22
	v_sub_co_ci_u32_e32 v4, vcc_lo, 0, v4, vcc_lo
	v_subrev_co_ci_u32_e64 v8, s2, 0, v8, s2
	v_cmp_le_u32_e32 vcc_lo, s22, v11
	s_delay_alu instid0(VALU_DEP_3) | instskip(SKIP_1) | instid1(VALU_DEP_4)
	v_cmp_eq_u32_e64 s2, s23, v4
	v_cndmask_b32_e64 v11, 0, -1, vcc_lo
	v_cmp_le_u32_e32 vcc_lo, s23, v8
	v_cndmask_b32_e64 v12, 0, -1, vcc_lo
	v_cmp_le_u32_e32 vcc_lo, s22, v3
	;; [unrolled: 2-line block ×3, first 2 shown]
	v_cndmask_b32_e64 v13, 0, -1, vcc_lo
	v_cmp_eq_u32_e32 vcc_lo, s23, v8
	s_delay_alu instid0(VALU_DEP_2) | instskip(SKIP_3) | instid1(VALU_DEP_3)
	v_cndmask_b32_e64 v3, v13, v3, s2
	v_cndmask_b32_e32 v8, v12, v11, vcc_lo
	v_add_co_u32 v11, vcc_lo, v5, 1
	v_add_co_ci_u32_e32 v12, vcc_lo, 0, v6, vcc_lo
	v_cmp_ne_u32_e32 vcc_lo, 0, v8
	s_delay_alu instid0(VALU_DEP_2) | instskip(NEXT) | instid1(VALU_DEP_4)
	v_cndmask_b32_e32 v4, v12, v10, vcc_lo
	v_cndmask_b32_e32 v8, v11, v9, vcc_lo
	v_cmp_ne_u32_e32 vcc_lo, 0, v3
	s_delay_alu instid0(VALU_DEP_3) | instskip(NEXT) | instid1(VALU_DEP_3)
	v_cndmask_b32_e32 v3, v6, v4, vcc_lo
	v_cndmask_b32_e32 v4, v5, v8, vcc_lo
	s_delay_alu instid0(VALU_DEP_2) | instskip(NEXT) | instid1(VALU_DEP_2)
	v_xor_b32_e32 v5, s21, v3
	v_xor_b32_e32 v4, s20, v4
	s_delay_alu instid0(VALU_DEP_1) | instskip(NEXT) | instid1(VALU_DEP_3)
	v_sub_co_u32 v3, vcc_lo, v4, s20
	v_subrev_co_ci_u32_e32 v4, vcc_lo, s21, v5, vcc_lo
	s_and_not1_b32 vcc_lo, exec_lo, s18
	s_cbranch_vccnz .LBB7_7
.LBB7_6:
	v_cvt_f32_u32_e32 v3, s12
	s_sub_i32 s2, 0, s12
	s_delay_alu instid0(VALU_DEP_1) | instskip(SKIP_2) | instid1(VALU_DEP_1)
	v_rcp_iflag_f32_e32 v3, v3
	s_waitcnt_depctr 0xfff
	v_mul_f32_e32 v3, 0x4f7ffffe, v3
	v_cvt_u32_f32_e32 v3, v3
	s_delay_alu instid0(VALU_DEP_1) | instskip(NEXT) | instid1(VALU_DEP_1)
	v_mul_lo_u32 v4, s2, v3
	v_mul_hi_u32 v4, v3, v4
	s_delay_alu instid0(VALU_DEP_1) | instskip(NEXT) | instid1(VALU_DEP_1)
	v_add_nc_u32_e32 v3, v3, v4
	v_mul_hi_u32 v3, v1, v3
	s_delay_alu instid0(VALU_DEP_1) | instskip(SKIP_1) | instid1(VALU_DEP_2)
	v_mul_lo_u32 v4, v3, s12
	v_add_nc_u32_e32 v5, 1, v3
	v_sub_nc_u32_e32 v4, v1, v4
	s_delay_alu instid0(VALU_DEP_1) | instskip(SKIP_1) | instid1(VALU_DEP_2)
	v_subrev_nc_u32_e32 v6, s12, v4
	v_cmp_le_u32_e32 vcc_lo, s12, v4
	v_dual_cndmask_b32 v4, v4, v6 :: v_dual_cndmask_b32 v3, v3, v5
	s_delay_alu instid0(VALU_DEP_1) | instskip(NEXT) | instid1(VALU_DEP_2)
	v_cmp_le_u32_e32 vcc_lo, s12, v4
	v_dual_mov_b32 v4, 0 :: v_dual_add_nc_u32 v5, 1, v3
	s_delay_alu instid0(VALU_DEP_1)
	v_cndmask_b32_e32 v3, v3, v5, vcc_lo
.LBB7_7:
	s_delay_alu instid0(VALU_DEP_1) | instskip(NEXT) | instid1(VALU_DEP_2)
	v_mul_lo_u32 v4, v4, s12
	v_mul_lo_u32 v8, v3, s15
	v_mad_u64_u32 v[5:6], null, v3, s12, 0
	v_mul_lo_u32 v9, v1, s4
	s_delay_alu instid0(VALU_DEP_2) | instskip(NEXT) | instid1(VALU_DEP_3)
	v_add3_u32 v6, v6, v8, v4
	v_sub_co_u32 v5, vcc_lo, v1, v5
	s_delay_alu instid0(VALU_DEP_3) | instskip(NEXT) | instid1(VALU_DEP_3)
	v_sub_nc_u32_e32 v4, v7, v9
	v_sub_co_ci_u32_e32 v6, vcc_lo, 0, v6, vcc_lo
.LBB7_8:
	v_bfe_u32 v9, v0, 10, 10
	s_lshr_b32 s2, s16, 16
	s_xor_b32 s18, s3, -1
	s_ashr_i32 s15, s10, 31
	s_delay_alu instid0(VALU_DEP_1) | instskip(SKIP_3) | instid1(VALU_DEP_1)
	v_mad_u64_u32 v[7:8], null, s14, s2, v[9:10]
	v_mov_b32_e32 v8, 0
	s_mov_b32 s14, s10
	s_mov_b32 s2, exec_lo
	v_cmpx_gt_i64_e64 s[14:15], v[7:8]
	s_cbranch_execz .LBB7_32
; %bb.9:
	v_and_b32_e32 v0, 0x3ff, v0
	s_and_b32 s2, s16, 0xffff
	s_ashr_i32 s17, s11, 31
	s_mov_b32 s16, s11
	s_delay_alu instid0(VALU_DEP_1) | instskip(SKIP_1) | instid1(VALU_DEP_1)
	v_mad_u64_u32 v[9:10], null, s13, s2, v[0:1]
	v_mov_b32_e32 v10, v8
	v_cmp_gt_i64_e32 vcc_lo, s[16:17], v[9:10]
	s_and_b32 exec_lo, exec_lo, vcc_lo
	s_cbranch_execz .LBB7_32
; %bb.10:
	s_ashr_i32 s13, s9, 31
	v_cmp_gt_i32_e64 s2, s8, v3
	v_cmp_gt_i64_e32 vcc_lo, s[12:13], v[5:6]
	v_cmp_gt_i32_e64 s3, s4, v4
	s_delay_alu instid0(VALU_DEP_3)
	s_and_b32 s2, vcc_lo, s2
	s_delay_alu instid0(VALU_DEP_1) | instid1(SALU_CYCLE_1)
	s_and_b32 s2, s3, s2
	s_delay_alu instid0(SALU_CYCLE_1)
	s_and_b32 exec_lo, exec_lo, s2
	s_cbranch_execz .LBB7_32
; %bb.11:
	v_cndmask_b32_e64 v0, 0, 1, s18
	s_and_not1_b32 vcc_lo, exec_lo, s18
	s_cbranch_vccnz .LBB7_14
; %bb.12:
	v_mad_u64_u32 v[11:12], null, v1, s12, v[5:6]
	v_mul_lo_u32 v13, v1, s13
	v_mul_lo_u32 v14, v2, s12
	s_delay_alu instid0(VALU_DEP_3) | instskip(NEXT) | instid1(VALU_DEP_2)
	v_mul_lo_u32 v15, v11, s15
	v_add3_u32 v12, v14, v12, v13
	v_mad_u64_u32 v[13:14], null, v11, s14, v[7:8]
	s_delay_alu instid0(VALU_DEP_2) | instskip(NEXT) | instid1(VALU_DEP_1)
	v_mul_lo_u32 v11, v12, s14
	v_add3_u32 v11, v11, v14, v15
	s_delay_alu instid0(VALU_DEP_3) | instskip(NEXT) | instid1(VALU_DEP_2)
	v_mul_lo_u32 v14, v13, s17
	v_mul_lo_u32 v15, v11, s16
	v_mad_u64_u32 v[11:12], null, v13, s16, v[9:10]
	s_delay_alu instid0(VALU_DEP_1)
	v_add3_u32 v12, v15, v12, v14
	s_cbranch_execz .LBB7_15
	s_branch .LBB7_16
.LBB7_13:
                                        ; implicit-def: $vgpr3_vgpr4
	s_branch .LBB7_6
.LBB7_14:
                                        ; implicit-def: $vgpr11_vgpr12
.LBB7_15:
	v_mad_i64_i32 v[11:12], null, v3, s12, v[5:6]
	s_ashr_i32 s2, s4, 31
	s_delay_alu instid0(VALU_DEP_1) | instskip(NEXT) | instid1(VALU_DEP_2)
	v_mul_lo_u32 v13, v11, s15
	v_mul_lo_u32 v12, v12, s14
	v_mad_u64_u32 v[5:6], null, v11, s14, v[7:8]
	s_delay_alu instid0(VALU_DEP_1) | instskip(NEXT) | instid1(VALU_DEP_2)
	v_add3_u32 v8, v12, v6, v13
	v_mul_lo_u32 v11, v5, s17
	v_mad_u64_u32 v[6:7], null, v5, s16, v[9:10]
	s_delay_alu instid0(VALU_DEP_3) | instskip(NEXT) | instid1(VALU_DEP_2)
	v_mul_lo_u32 v5, v8, s16
	v_mul_lo_u32 v8, v6, s2
	s_delay_alu instid0(VALU_DEP_2) | instskip(SKIP_1) | instid1(VALU_DEP_2)
	v_add3_u32 v7, v5, v7, v11
	v_ashrrev_i32_e32 v5, 31, v4
	v_mul_lo_u32 v7, v7, s4
	s_delay_alu instid0(VALU_DEP_2) | instskip(NEXT) | instid1(VALU_DEP_1)
	v_mad_u64_u32 v[11:12], null, v6, s4, v[4:5]
	v_add3_u32 v12, v7, v12, v8
.LBB7_16:
	s_load_b64 s[2:3], s[0:1], 0x10
	s_delay_alu instid0(VALU_DEP_1) | instskip(SKIP_1) | instid1(VALU_DEP_1)
	v_lshlrev_b64 v[5:6], 3, v[11:12]
	s_waitcnt lgkmcnt(0)
	v_add_co_u32 v5, vcc_lo, s2, v5
	s_delay_alu instid0(VALU_DEP_2)
	v_add_co_ci_u32_e32 v6, vcc_lo, s3, v6, vcc_lo
	global_load_b64 v[8:9], v[5:6], off
	s_waitcnt vmcnt(0)
	v_cmp_ne_u64_e32 vcc_lo, -1, v[8:9]
	s_and_b32 exec_lo, exec_lo, vcc_lo
	s_cbranch_execz .LBB7_32
; %bb.17:
	s_load_b128 s[8:11], s[0:1], 0x0
	v_cmp_ne_u32_e32 vcc_lo, 1, v0
	v_lshlrev_b64 v[6:7], 1, v[11:12]
	s_mul_i32 s2, s6, s5
	s_mul_hi_i32 s3, s6, s5
	s_mov_b32 s0, -1
	s_mul_hi_u32 s6, s2, s7
	s_mul_i32 s3, s3, s7
	s_mul_i32 s5, s2, s7
	s_cbranch_vccnz .LBB7_25
; %bb.18:
	s_ashr_i32 s0, s7, 31
	v_mul_lo_u32 v0, s5, v2
	s_mul_i32 s0, s2, s0
	v_mad_u64_u32 v[10:11], null, s5, v1, 0
	s_add_i32 s0, s6, s0
	s_mov_b32 s12, 0
	s_add_i32 s0, s0, s3
	s_delay_alu instid0(SALU_CYCLE_1) | instskip(SKIP_2) | instid1(VALU_DEP_1)
	v_mul_lo_u32 v1, s0, v1
	s_waitcnt lgkmcnt(0)
	v_add_co_u32 v12, s0, s10, v6
	v_add_co_ci_u32_e64 v13, s0, s11, v7, s0
	s_delay_alu instid0(VALU_DEP_3) | instskip(NEXT) | instid1(VALU_DEP_1)
	v_add3_u32 v11, v11, v0, v1
	v_lshlrev_b64 v[0:1], 1, v[10:11]
	v_lshlrev_b64 v[10:11], 1, v[8:9]
	s_delay_alu instid0(VALU_DEP_2) | instskip(NEXT) | instid1(VALU_DEP_3)
	v_add_co_u32 v0, vcc_lo, s8, v0
	v_add_co_ci_u32_e32 v1, vcc_lo, s9, v1, vcc_lo
	s_delay_alu instid0(VALU_DEP_2) | instskip(NEXT) | instid1(VALU_DEP_2)
	v_add_co_u32 v2, vcc_lo, v0, v10
	v_add_co_ci_u32_e32 v1, vcc_lo, v1, v11, vcc_lo
	s_delay_alu instid0(VALU_DEP_2) | instskip(SKIP_3) | instid1(VALU_DEP_1)
	v_and_b32_e32 v0, -3, v2
	global_load_u16 v5, v[12:13], off
	global_load_b32 v11, v[0:1], off
	v_dual_mov_b32 v13, 0 :: v_dual_and_b32 v12, 2, v2
	v_cmp_eq_u64_e32 vcc_lo, 0, v[12:13]
	v_cmp_ne_u32_e64 s0, 0, v12
	s_waitcnt vmcnt(1)
	v_lshlrev_b32_e32 v2, 16, v5
	s_set_inst_prefetch_distance 0x1
	s_branch .LBB7_20
	.p2align	6
.LBB7_19:                               ;   in Loop: Header=BB7_20 Depth=1
	s_or_b32 exec_lo, exec_lo, s1
	global_atomic_cmpswap_b32 v5, v[0:1], v[10:11], off glc
	s_waitcnt vmcnt(0)
	v_cmp_eq_u32_e64 s1, v11, v5
	v_mov_b32_e32 v11, v5
	s_delay_alu instid0(VALU_DEP_2) | instskip(NEXT) | instid1(SALU_CYCLE_1)
	s_or_b32 s12, s1, s12
	s_and_not1_b32 exec_lo, exec_lo, s12
	s_cbranch_execz .LBB7_24
.LBB7_20:                               ; =>This Inner Loop Header: Depth=1
	s_waitcnt vmcnt(0)
	v_lshrrev_b32_e32 v5, 16, v11
	s_delay_alu instid0(VALU_DEP_1) | instskip(NEXT) | instid1(VALU_DEP_1)
	v_cndmask_b32_e32 v5, v5, v11, vcc_lo
	v_lshlrev_b32_e32 v5, 16, v5
	s_delay_alu instid0(VALU_DEP_1) | instskip(NEXT) | instid1(VALU_DEP_1)
	v_add_f32_e32 v5, v2, v5
	v_bfe_u32 v10, v5, 16, 1
	v_cmp_o_f32_e64 s1, v5, v5
	s_delay_alu instid0(VALU_DEP_2) | instskip(NEXT) | instid1(VALU_DEP_1)
	v_add3_u32 v10, v5, v10, 0x7fff
	v_lshrrev_b32_e32 v10, 16, v10
	s_delay_alu instid0(VALU_DEP_1) | instskip(SKIP_1) | instid1(SALU_CYCLE_1)
	v_cndmask_b32_e64 v5, 0x7fc0, v10, s1
	s_and_saveexec_b32 s1, s0
	s_xor_b32 s1, exec_lo, s1
; %bb.21:                               ;   in Loop: Header=BB7_20 Depth=1
	v_and_b32_e32 v10, 0xffff, v11
	s_delay_alu instid0(VALU_DEP_1)
	v_lshl_or_b32 v10, v5, 16, v10
                                        ; implicit-def: $vgpr5
; %bb.22:                               ;   in Loop: Header=BB7_20 Depth=1
	s_and_not1_saveexec_b32 s1, s1
	s_cbranch_execz .LBB7_19
; %bb.23:                               ;   in Loop: Header=BB7_20 Depth=1
	v_and_or_b32 v10, 0xffff0000, v11, v5
	s_branch .LBB7_19
.LBB7_24:
	s_set_inst_prefetch_distance 0x2
	s_or_b32 exec_lo, exec_lo, s12
	s_mov_b32 s0, 0
.LBB7_25:
	s_delay_alu instid0(SALU_CYCLE_1)
	s_and_b32 vcc_lo, exec_lo, s0
	s_cbranch_vccz .LBB7_32
; %bb.26:
	s_ashr_i32 s0, s7, 31
	v_ashrrev_i32_e32 v2, 31, v3
	s_mul_i32 s2, s2, s0
	v_mad_u64_u32 v[0:1], null, s5, v3, v[8:9]
	s_add_i32 s0, s6, s2
	s_delay_alu instid0(VALU_DEP_2)
	v_mul_lo_u32 v2, s5, v2
	s_add_i32 s0, s0, s3
	s_mov_b32 s2, 0
	v_mul_lo_u32 v3, s0, v3
	s_ashr_i32 s0, s4, 31
	s_delay_alu instid0(VALU_DEP_3) | instid1(SALU_CYCLE_1)
	v_mul_lo_u32 v5, v0, s0
	s_delay_alu instid0(VALU_DEP_2) | instskip(SKIP_1) | instid1(VALU_DEP_2)
	v_add3_u32 v3, v3, v1, v2
	v_mad_u64_u32 v[1:2], null, v0, s4, 0
	v_mul_lo_u32 v0, v3, s4
	s_delay_alu instid0(VALU_DEP_1) | instskip(SKIP_1) | instid1(VALU_DEP_2)
	v_add3_u32 v2, v2, v5, v0
	v_ashrrev_i32_e32 v5, 31, v4
	v_lshlrev_b64 v[0:1], 1, v[1:2]
	s_delay_alu instid0(VALU_DEP_2) | instskip(SKIP_2) | instid1(VALU_DEP_1)
	v_lshlrev_b64 v[2:3], 1, v[4:5]
	s_waitcnt lgkmcnt(0)
	v_add_co_u32 v4, s0, s10, v6
	v_add_co_ci_u32_e64 v5, s0, s11, v7, s0
	s_delay_alu instid0(VALU_DEP_4) | instskip(SKIP_1) | instid1(VALU_DEP_2)
	v_add_co_u32 v0, vcc_lo, s8, v0
	v_add_co_ci_u32_e32 v1, vcc_lo, s9, v1, vcc_lo
	v_add_co_u32 v2, vcc_lo, v0, v2
	s_delay_alu instid0(VALU_DEP_2) | instskip(NEXT) | instid1(VALU_DEP_2)
	v_add_co_ci_u32_e32 v1, vcc_lo, v1, v3, vcc_lo
	v_and_b32_e32 v0, -3, v2
	global_load_u16 v6, v[4:5], off
	global_load_b32 v3, v[0:1], off
	v_dual_mov_b32 v5, 0 :: v_dual_and_b32 v4, 2, v2
	s_delay_alu instid0(VALU_DEP_1)
	v_cmp_eq_u64_e32 vcc_lo, 0, v[4:5]
	v_cmp_ne_u32_e64 s0, 0, v4
	s_waitcnt vmcnt(1)
	v_lshlrev_b32_e32 v4, 16, v6
	s_set_inst_prefetch_distance 0x1
	s_branch .LBB7_28
	.p2align	6
.LBB7_27:                               ;   in Loop: Header=BB7_28 Depth=1
	s_or_b32 exec_lo, exec_lo, s1
	global_atomic_cmpswap_b32 v2, v[0:1], v[2:3], off glc
	s_waitcnt vmcnt(0)
	v_cmp_eq_u32_e64 s1, v3, v2
	v_mov_b32_e32 v3, v2
	s_delay_alu instid0(VALU_DEP_2) | instskip(NEXT) | instid1(SALU_CYCLE_1)
	s_or_b32 s2, s1, s2
	s_and_not1_b32 exec_lo, exec_lo, s2
	s_cbranch_execz .LBB7_32
.LBB7_28:                               ; =>This Inner Loop Header: Depth=1
	s_waitcnt vmcnt(0)
	v_lshrrev_b32_e32 v2, 16, v3
	s_delay_alu instid0(VALU_DEP_1) | instskip(NEXT) | instid1(VALU_DEP_1)
	v_cndmask_b32_e32 v2, v2, v3, vcc_lo
	v_lshlrev_b32_e32 v2, 16, v2
	s_delay_alu instid0(VALU_DEP_1) | instskip(NEXT) | instid1(VALU_DEP_1)
	v_add_f32_e32 v2, v4, v2
	v_bfe_u32 v5, v2, 16, 1
	v_cmp_o_f32_e64 s1, v2, v2
	s_delay_alu instid0(VALU_DEP_2) | instskip(NEXT) | instid1(VALU_DEP_1)
	v_add3_u32 v5, v2, v5, 0x7fff
	v_lshrrev_b32_e32 v5, 16, v5
	s_delay_alu instid0(VALU_DEP_1) | instskip(SKIP_1) | instid1(SALU_CYCLE_1)
	v_cndmask_b32_e64 v5, 0x7fc0, v5, s1
	s_and_saveexec_b32 s1, s0
	s_xor_b32 s1, exec_lo, s1
; %bb.29:                               ;   in Loop: Header=BB7_28 Depth=1
	v_and_b32_e32 v2, 0xffff, v3
	s_delay_alu instid0(VALU_DEP_1)
	v_lshl_or_b32 v2, v5, 16, v2
                                        ; implicit-def: $vgpr5
; %bb.30:                               ;   in Loop: Header=BB7_28 Depth=1
	s_and_not1_saveexec_b32 s1, s1
	s_cbranch_execz .LBB7_27
; %bb.31:                               ;   in Loop: Header=BB7_28 Depth=1
	v_and_or_b32 v2, 0xffff0000, v3, v5
	s_branch .LBB7_27
.LBB7_32:
	s_set_inst_prefetch_distance 0x2
	s_endpgm
	.section	.rodata,"a",@progbits
	.p2align	6, 0x0
	.amdhsa_kernel _ZN2at6native12_GLOBAL__N_149max_pool3d_with_indices_backward_single_out_frameIN3c108BFloat16EEEvPT_PKS5_PKliiiiiiiiib
		.amdhsa_group_segment_fixed_size 0
		.amdhsa_private_segment_fixed_size 0
		.amdhsa_kernarg_size 320
		.amdhsa_user_sgpr_count 13
		.amdhsa_user_sgpr_dispatch_ptr 0
		.amdhsa_user_sgpr_queue_ptr 0
		.amdhsa_user_sgpr_kernarg_segment_ptr 1
		.amdhsa_user_sgpr_dispatch_id 0
		.amdhsa_user_sgpr_private_segment_size 0
		.amdhsa_wavefront_size32 1
		.amdhsa_uses_dynamic_stack 0
		.amdhsa_enable_private_segment 0
		.amdhsa_system_sgpr_workgroup_id_x 1
		.amdhsa_system_sgpr_workgroup_id_y 1
		.amdhsa_system_sgpr_workgroup_id_z 1
		.amdhsa_system_sgpr_workgroup_info 0
		.amdhsa_system_vgpr_workitem_id 2
		.amdhsa_next_free_vgpr 16
		.amdhsa_next_free_sgpr 24
		.amdhsa_reserve_vcc 1
		.amdhsa_float_round_mode_32 0
		.amdhsa_float_round_mode_16_64 0
		.amdhsa_float_denorm_mode_32 3
		.amdhsa_float_denorm_mode_16_64 3
		.amdhsa_dx10_clamp 1
		.amdhsa_ieee_mode 1
		.amdhsa_fp16_overflow 0
		.amdhsa_workgroup_processor_mode 1
		.amdhsa_memory_ordered 1
		.amdhsa_forward_progress 0
		.amdhsa_shared_vgpr_count 0
		.amdhsa_exception_fp_ieee_invalid_op 0
		.amdhsa_exception_fp_denorm_src 0
		.amdhsa_exception_fp_ieee_div_zero 0
		.amdhsa_exception_fp_ieee_overflow 0
		.amdhsa_exception_fp_ieee_underflow 0
		.amdhsa_exception_fp_ieee_inexact 0
		.amdhsa_exception_int_div_zero 0
	.end_amdhsa_kernel
	.section	.text._ZN2at6native12_GLOBAL__N_149max_pool3d_with_indices_backward_single_out_frameIN3c108BFloat16EEEvPT_PKS5_PKliiiiiiiiib,"axG",@progbits,_ZN2at6native12_GLOBAL__N_149max_pool3d_with_indices_backward_single_out_frameIN3c108BFloat16EEEvPT_PKS5_PKliiiiiiiiib,comdat
.Lfunc_end7:
	.size	_ZN2at6native12_GLOBAL__N_149max_pool3d_with_indices_backward_single_out_frameIN3c108BFloat16EEEvPT_PKS5_PKliiiiiiiiib, .Lfunc_end7-_ZN2at6native12_GLOBAL__N_149max_pool3d_with_indices_backward_single_out_frameIN3c108BFloat16EEEvPT_PKS5_PKliiiiiiiiib
                                        ; -- End function
	.section	.AMDGPU.csdata,"",@progbits
; Kernel info:
; codeLenInByte = 2784
; NumSgprs: 26
; NumVgprs: 16
; ScratchSize: 0
; MemoryBound: 0
; FloatMode: 240
; IeeeMode: 1
; LDSByteSize: 0 bytes/workgroup (compile time only)
; SGPRBlocks: 3
; VGPRBlocks: 1
; NumSGPRsForWavesPerEU: 26
; NumVGPRsForWavesPerEU: 16
; Occupancy: 16
; WaveLimiterHint : 1
; COMPUTE_PGM_RSRC2:SCRATCH_EN: 0
; COMPUTE_PGM_RSRC2:USER_SGPR: 13
; COMPUTE_PGM_RSRC2:TRAP_HANDLER: 0
; COMPUTE_PGM_RSRC2:TGID_X_EN: 1
; COMPUTE_PGM_RSRC2:TGID_Y_EN: 1
; COMPUTE_PGM_RSRC2:TGID_Z_EN: 1
; COMPUTE_PGM_RSRC2:TIDIG_COMP_CNT: 2
	.text
	.p2alignl 7, 3214868480
	.fill 96, 4, 3214868480
	.type	__hip_cuid_fcd42b8b7aba3cdc,@object ; @__hip_cuid_fcd42b8b7aba3cdc
	.section	.bss,"aw",@nobits
	.globl	__hip_cuid_fcd42b8b7aba3cdc
__hip_cuid_fcd42b8b7aba3cdc:
	.byte	0                               ; 0x0
	.size	__hip_cuid_fcd42b8b7aba3cdc, 1

	.ident	"AMD clang version 19.0.0git (https://github.com/RadeonOpenCompute/llvm-project roc-6.4.0 25133 c7fe45cf4b819c5991fe208aaa96edf142730f1d)"
	.section	".note.GNU-stack","",@progbits
	.addrsig
	.addrsig_sym __hip_cuid_fcd42b8b7aba3cdc
	.amdgpu_metadata
---
amdhsa.kernels:
  - .args:
      - .address_space:  global
        .offset:         0
        .size:           8
        .value_kind:     global_buffer
      - .address_space:  global
        .offset:         8
        .size:           8
        .value_kind:     global_buffer
      - .address_space:  global
        .offset:         16
        .size:           8
        .value_kind:     global_buffer
      - .offset:         24
        .size:           4
        .value_kind:     by_value
      - .offset:         28
        .size:           4
        .value_kind:     by_value
      - .offset:         32
        .size:           4
        .value_kind:     by_value
      - .offset:         36
        .size:           4
        .value_kind:     by_value
      - .offset:         40
        .size:           4
        .value_kind:     by_value
      - .offset:         44
        .size:           4
        .value_kind:     by_value
      - .offset:         48
        .size:           4
        .value_kind:     by_value
      - .offset:         52
        .size:           4
        .value_kind:     by_value
      - .offset:         56
        .size:           4
        .value_kind:     by_value
      - .offset:         60
        .size:           4
        .value_kind:     by_value
      - .offset:         64
        .size:           4
        .value_kind:     by_value
      - .offset:         68
        .size:           4
        .value_kind:     by_value
      - .offset:         72
        .size:           4
        .value_kind:     by_value
      - .offset:         76
        .size:           4
        .value_kind:     by_value
      - .offset:         80
        .size:           4
        .value_kind:     by_value
      - .offset:         84
        .size:           4
        .value_kind:     by_value
      - .offset:         88
        .size:           4
        .value_kind:     by_value
      - .offset:         92
        .size:           4
        .value_kind:     by_value
      - .offset:         96
        .size:           4
        .value_kind:     by_value
      - .offset:         100
        .size:           4
        .value_kind:     by_value
      - .offset:         104
        .size:           4
        .value_kind:     by_value
      - .offset:         108
        .size:           1
        .value_kind:     by_value
      - .offset:         112
        .size:           4
        .value_kind:     hidden_block_count_x
      - .offset:         116
        .size:           4
        .value_kind:     hidden_block_count_y
      - .offset:         120
        .size:           4
        .value_kind:     hidden_block_count_z
      - .offset:         124
        .size:           2
        .value_kind:     hidden_group_size_x
      - .offset:         126
        .size:           2
        .value_kind:     hidden_group_size_y
      - .offset:         128
        .size:           2
        .value_kind:     hidden_group_size_z
      - .offset:         130
        .size:           2
        .value_kind:     hidden_remainder_x
      - .offset:         132
        .size:           2
        .value_kind:     hidden_remainder_y
      - .offset:         134
        .size:           2
        .value_kind:     hidden_remainder_z
      - .offset:         152
        .size:           8
        .value_kind:     hidden_global_offset_x
      - .offset:         160
        .size:           8
        .value_kind:     hidden_global_offset_y
      - .offset:         168
        .size:           8
        .value_kind:     hidden_global_offset_z
      - .offset:         176
        .size:           2
        .value_kind:     hidden_grid_dims
    .group_segment_fixed_size: 0
    .kernarg_segment_align: 8
    .kernarg_segment_size: 368
    .language:       OpenCL C
    .language_version:
      - 2
      - 0
    .max_flat_workgroup_size: 1024
    .name:           _ZN2at6native12_GLOBAL__N_140max_pool3d_with_indices_single_out_frameIdEEvPKT_PS3_Pliiiiiiiiiiiiiiiiiiiiib
    .private_segment_fixed_size: 0
    .sgpr_count:     40
    .sgpr_spill_count: 0
    .symbol:         _ZN2at6native12_GLOBAL__N_140max_pool3d_with_indices_single_out_frameIdEEvPKT_PS3_Pliiiiiiiiiiiiiiiiiiiiib.kd
    .uniform_work_group_size: 1
    .uses_dynamic_stack: false
    .vgpr_count:     35
    .vgpr_spill_count: 0
    .wavefront_size: 32
    .workgroup_processor_mode: 1
  - .args:
      - .address_space:  global
        .offset:         0
        .size:           8
        .value_kind:     global_buffer
      - .address_space:  global
        .offset:         8
        .size:           8
        .value_kind:     global_buffer
      - .address_space:  global
        .offset:         16
        .size:           8
        .value_kind:     global_buffer
      - .offset:         24
        .size:           4
        .value_kind:     by_value
      - .offset:         28
        .size:           4
        .value_kind:     by_value
      - .offset:         32
        .size:           4
        .value_kind:     by_value
      - .offset:         36
        .size:           4
        .value_kind:     by_value
      - .offset:         40
        .size:           4
        .value_kind:     by_value
      - .offset:         44
        .size:           4
        .value_kind:     by_value
      - .offset:         48
        .size:           4
        .value_kind:     by_value
      - .offset:         52
        .size:           4
        .value_kind:     by_value
      - .offset:         56
        .size:           4
        .value_kind:     by_value
      - .offset:         60
        .size:           4
        .value_kind:     by_value
      - .offset:         64
        .size:           4
        .value_kind:     by_value
      - .offset:         68
        .size:           4
        .value_kind:     by_value
      - .offset:         72
        .size:           4
        .value_kind:     by_value
      - .offset:         76
        .size:           4
        .value_kind:     by_value
      - .offset:         80
        .size:           4
        .value_kind:     by_value
      - .offset:         84
        .size:           4
        .value_kind:     by_value
      - .offset:         88
        .size:           4
        .value_kind:     by_value
      - .offset:         92
        .size:           4
        .value_kind:     by_value
      - .offset:         96
        .size:           4
        .value_kind:     by_value
      - .offset:         100
        .size:           4
        .value_kind:     by_value
      - .offset:         104
        .size:           4
        .value_kind:     by_value
      - .offset:         108
        .size:           1
        .value_kind:     by_value
      - .offset:         112
        .size:           4
        .value_kind:     hidden_block_count_x
      - .offset:         116
        .size:           4
        .value_kind:     hidden_block_count_y
      - .offset:         120
        .size:           4
        .value_kind:     hidden_block_count_z
      - .offset:         124
        .size:           2
        .value_kind:     hidden_group_size_x
      - .offset:         126
        .size:           2
        .value_kind:     hidden_group_size_y
      - .offset:         128
        .size:           2
        .value_kind:     hidden_group_size_z
      - .offset:         130
        .size:           2
        .value_kind:     hidden_remainder_x
      - .offset:         132
        .size:           2
        .value_kind:     hidden_remainder_y
      - .offset:         134
        .size:           2
        .value_kind:     hidden_remainder_z
      - .offset:         152
        .size:           8
        .value_kind:     hidden_global_offset_x
      - .offset:         160
        .size:           8
        .value_kind:     hidden_global_offset_y
      - .offset:         168
        .size:           8
        .value_kind:     hidden_global_offset_z
      - .offset:         176
        .size:           2
        .value_kind:     hidden_grid_dims
    .group_segment_fixed_size: 0
    .kernarg_segment_align: 8
    .kernarg_segment_size: 368
    .language:       OpenCL C
    .language_version:
      - 2
      - 0
    .max_flat_workgroup_size: 1024
    .name:           _ZN2at6native12_GLOBAL__N_140max_pool3d_with_indices_single_out_frameIfEEvPKT_PS3_Pliiiiiiiiiiiiiiiiiiiiib
    .private_segment_fixed_size: 0
    .sgpr_count:     40
    .sgpr_spill_count: 0
    .symbol:         _ZN2at6native12_GLOBAL__N_140max_pool3d_with_indices_single_out_frameIfEEvPKT_PS3_Pliiiiiiiiiiiiiiiiiiiiib.kd
    .uniform_work_group_size: 1
    .uses_dynamic_stack: false
    .vgpr_count:     34
    .vgpr_spill_count: 0
    .wavefront_size: 32
    .workgroup_processor_mode: 1
  - .args:
      - .address_space:  global
        .offset:         0
        .size:           8
        .value_kind:     global_buffer
      - .address_space:  global
        .offset:         8
        .size:           8
        .value_kind:     global_buffer
      - .address_space:  global
        .offset:         16
        .size:           8
        .value_kind:     global_buffer
      - .offset:         24
        .size:           4
        .value_kind:     by_value
      - .offset:         28
        .size:           4
        .value_kind:     by_value
      - .offset:         32
        .size:           4
        .value_kind:     by_value
      - .offset:         36
        .size:           4
        .value_kind:     by_value
      - .offset:         40
        .size:           4
        .value_kind:     by_value
      - .offset:         44
        .size:           4
        .value_kind:     by_value
      - .offset:         48
        .size:           4
        .value_kind:     by_value
      - .offset:         52
        .size:           4
        .value_kind:     by_value
      - .offset:         56
        .size:           4
        .value_kind:     by_value
      - .offset:         60
        .size:           4
        .value_kind:     by_value
      - .offset:         64
        .size:           4
        .value_kind:     by_value
      - .offset:         68
        .size:           4
        .value_kind:     by_value
      - .offset:         72
        .size:           4
        .value_kind:     by_value
      - .offset:         76
        .size:           4
        .value_kind:     by_value
      - .offset:         80
        .size:           4
        .value_kind:     by_value
      - .offset:         84
        .size:           4
        .value_kind:     by_value
      - .offset:         88
        .size:           4
        .value_kind:     by_value
      - .offset:         92
        .size:           4
        .value_kind:     by_value
      - .offset:         96
        .size:           4
        .value_kind:     by_value
      - .offset:         100
        .size:           4
        .value_kind:     by_value
      - .offset:         104
        .size:           4
        .value_kind:     by_value
      - .offset:         108
        .size:           1
        .value_kind:     by_value
      - .offset:         112
        .size:           4
        .value_kind:     hidden_block_count_x
      - .offset:         116
        .size:           4
        .value_kind:     hidden_block_count_y
      - .offset:         120
        .size:           4
        .value_kind:     hidden_block_count_z
      - .offset:         124
        .size:           2
        .value_kind:     hidden_group_size_x
      - .offset:         126
        .size:           2
        .value_kind:     hidden_group_size_y
      - .offset:         128
        .size:           2
        .value_kind:     hidden_group_size_z
      - .offset:         130
        .size:           2
        .value_kind:     hidden_remainder_x
      - .offset:         132
        .size:           2
        .value_kind:     hidden_remainder_y
      - .offset:         134
        .size:           2
        .value_kind:     hidden_remainder_z
      - .offset:         152
        .size:           8
        .value_kind:     hidden_global_offset_x
      - .offset:         160
        .size:           8
        .value_kind:     hidden_global_offset_y
      - .offset:         168
        .size:           8
        .value_kind:     hidden_global_offset_z
      - .offset:         176
        .size:           2
        .value_kind:     hidden_grid_dims
    .group_segment_fixed_size: 0
    .kernarg_segment_align: 8
    .kernarg_segment_size: 368
    .language:       OpenCL C
    .language_version:
      - 2
      - 0
    .max_flat_workgroup_size: 1024
    .name:           _ZN2at6native12_GLOBAL__N_140max_pool3d_with_indices_single_out_frameIN3c104HalfEEEvPKT_PS5_Pliiiiiiiiiiiiiiiiiiiiib
    .private_segment_fixed_size: 0
    .sgpr_count:     40
    .sgpr_spill_count: 0
    .symbol:         _ZN2at6native12_GLOBAL__N_140max_pool3d_with_indices_single_out_frameIN3c104HalfEEEvPKT_PS5_Pliiiiiiiiiiiiiiiiiiiiib.kd
    .uniform_work_group_size: 1
    .uses_dynamic_stack: false
    .vgpr_count:     34
    .vgpr_spill_count: 0
    .wavefront_size: 32
    .workgroup_processor_mode: 1
  - .args:
      - .address_space:  global
        .offset:         0
        .size:           8
        .value_kind:     global_buffer
      - .address_space:  global
        .offset:         8
        .size:           8
        .value_kind:     global_buffer
      - .address_space:  global
        .offset:         16
        .size:           8
        .value_kind:     global_buffer
      - .offset:         24
        .size:           4
        .value_kind:     by_value
      - .offset:         28
        .size:           4
        .value_kind:     by_value
      - .offset:         32
        .size:           4
        .value_kind:     by_value
      - .offset:         36
        .size:           4
        .value_kind:     by_value
      - .offset:         40
        .size:           4
        .value_kind:     by_value
      - .offset:         44
        .size:           4
        .value_kind:     by_value
      - .offset:         48
        .size:           4
        .value_kind:     by_value
      - .offset:         52
        .size:           4
        .value_kind:     by_value
      - .offset:         56
        .size:           4
        .value_kind:     by_value
      - .offset:         60
        .size:           4
        .value_kind:     by_value
      - .offset:         64
        .size:           4
        .value_kind:     by_value
      - .offset:         68
        .size:           4
        .value_kind:     by_value
      - .offset:         72
        .size:           4
        .value_kind:     by_value
      - .offset:         76
        .size:           4
        .value_kind:     by_value
      - .offset:         80
        .size:           4
        .value_kind:     by_value
      - .offset:         84
        .size:           4
        .value_kind:     by_value
      - .offset:         88
        .size:           4
        .value_kind:     by_value
      - .offset:         92
        .size:           4
        .value_kind:     by_value
      - .offset:         96
        .size:           4
        .value_kind:     by_value
      - .offset:         100
        .size:           4
        .value_kind:     by_value
      - .offset:         104
        .size:           4
        .value_kind:     by_value
      - .offset:         108
        .size:           1
        .value_kind:     by_value
      - .offset:         112
        .size:           4
        .value_kind:     hidden_block_count_x
      - .offset:         116
        .size:           4
        .value_kind:     hidden_block_count_y
      - .offset:         120
        .size:           4
        .value_kind:     hidden_block_count_z
      - .offset:         124
        .size:           2
        .value_kind:     hidden_group_size_x
      - .offset:         126
        .size:           2
        .value_kind:     hidden_group_size_y
      - .offset:         128
        .size:           2
        .value_kind:     hidden_group_size_z
      - .offset:         130
        .size:           2
        .value_kind:     hidden_remainder_x
      - .offset:         132
        .size:           2
        .value_kind:     hidden_remainder_y
      - .offset:         134
        .size:           2
        .value_kind:     hidden_remainder_z
      - .offset:         152
        .size:           8
        .value_kind:     hidden_global_offset_x
      - .offset:         160
        .size:           8
        .value_kind:     hidden_global_offset_y
      - .offset:         168
        .size:           8
        .value_kind:     hidden_global_offset_z
      - .offset:         176
        .size:           2
        .value_kind:     hidden_grid_dims
    .group_segment_fixed_size: 0
    .kernarg_segment_align: 8
    .kernarg_segment_size: 368
    .language:       OpenCL C
    .language_version:
      - 2
      - 0
    .max_flat_workgroup_size: 1024
    .name:           _ZN2at6native12_GLOBAL__N_140max_pool3d_with_indices_single_out_frameIN3c108BFloat16EEEvPKT_PS5_Pliiiiiiiiiiiiiiiiiiiiib
    .private_segment_fixed_size: 0
    .sgpr_count:     40
    .sgpr_spill_count: 0
    .symbol:         _ZN2at6native12_GLOBAL__N_140max_pool3d_with_indices_single_out_frameIN3c108BFloat16EEEvPKT_PS5_Pliiiiiiiiiiiiiiiiiiiiib.kd
    .uniform_work_group_size: 1
    .uses_dynamic_stack: false
    .vgpr_count:     34
    .vgpr_spill_count: 0
    .wavefront_size: 32
    .workgroup_processor_mode: 1
  - .args:
      - .address_space:  global
        .offset:         0
        .size:           8
        .value_kind:     global_buffer
      - .address_space:  global
        .offset:         8
        .size:           8
        .value_kind:     global_buffer
      - .address_space:  global
        .offset:         16
        .size:           8
        .value_kind:     global_buffer
      - .offset:         24
        .size:           4
        .value_kind:     by_value
      - .offset:         28
        .size:           4
        .value_kind:     by_value
      - .offset:         32
        .size:           4
        .value_kind:     by_value
      - .offset:         36
        .size:           4
        .value_kind:     by_value
      - .offset:         40
        .size:           4
        .value_kind:     by_value
      - .offset:         44
        .size:           4
        .value_kind:     by_value
      - .offset:         48
        .size:           4
        .value_kind:     by_value
      - .offset:         52
        .size:           4
        .value_kind:     by_value
      - .offset:         56
        .size:           4
        .value_kind:     by_value
      - .offset:         60
        .size:           1
        .value_kind:     by_value
      - .offset:         64
        .size:           4
        .value_kind:     hidden_block_count_x
      - .offset:         68
        .size:           4
        .value_kind:     hidden_block_count_y
      - .offset:         72
        .size:           4
        .value_kind:     hidden_block_count_z
      - .offset:         76
        .size:           2
        .value_kind:     hidden_group_size_x
      - .offset:         78
        .size:           2
        .value_kind:     hidden_group_size_y
      - .offset:         80
        .size:           2
        .value_kind:     hidden_group_size_z
      - .offset:         82
        .size:           2
        .value_kind:     hidden_remainder_x
      - .offset:         84
        .size:           2
        .value_kind:     hidden_remainder_y
      - .offset:         86
        .size:           2
        .value_kind:     hidden_remainder_z
      - .offset:         104
        .size:           8
        .value_kind:     hidden_global_offset_x
      - .offset:         112
        .size:           8
        .value_kind:     hidden_global_offset_y
      - .offset:         120
        .size:           8
        .value_kind:     hidden_global_offset_z
      - .offset:         128
        .size:           2
        .value_kind:     hidden_grid_dims
    .group_segment_fixed_size: 0
    .kernarg_segment_align: 8
    .kernarg_segment_size: 320
    .language:       OpenCL C
    .language_version:
      - 2
      - 0
    .max_flat_workgroup_size: 1024
    .name:           _ZN2at6native12_GLOBAL__N_149max_pool3d_with_indices_backward_single_out_frameIdEEvPT_PKS3_PKliiiiiiiiib
    .private_segment_fixed_size: 0
    .sgpr_count:     26
    .sgpr_spill_count: 0
    .symbol:         _ZN2at6native12_GLOBAL__N_149max_pool3d_with_indices_backward_single_out_frameIdEEvPT_PKS3_PKliiiiiiiiib.kd
    .uniform_work_group_size: 1
    .uses_dynamic_stack: false
    .vgpr_count:     16
    .vgpr_spill_count: 0
    .wavefront_size: 32
    .workgroup_processor_mode: 1
  - .args:
      - .address_space:  global
        .offset:         0
        .size:           8
        .value_kind:     global_buffer
      - .address_space:  global
        .offset:         8
        .size:           8
        .value_kind:     global_buffer
      - .address_space:  global
        .offset:         16
        .size:           8
        .value_kind:     global_buffer
      - .offset:         24
        .size:           4
        .value_kind:     by_value
      - .offset:         28
        .size:           4
        .value_kind:     by_value
      - .offset:         32
        .size:           4
        .value_kind:     by_value
      - .offset:         36
        .size:           4
        .value_kind:     by_value
      - .offset:         40
        .size:           4
        .value_kind:     by_value
      - .offset:         44
        .size:           4
        .value_kind:     by_value
      - .offset:         48
        .size:           4
        .value_kind:     by_value
      - .offset:         52
        .size:           4
        .value_kind:     by_value
      - .offset:         56
        .size:           4
        .value_kind:     by_value
      - .offset:         60
        .size:           1
        .value_kind:     by_value
      - .offset:         64
        .size:           4
        .value_kind:     hidden_block_count_x
      - .offset:         68
        .size:           4
        .value_kind:     hidden_block_count_y
      - .offset:         72
        .size:           4
        .value_kind:     hidden_block_count_z
      - .offset:         76
        .size:           2
        .value_kind:     hidden_group_size_x
      - .offset:         78
        .size:           2
        .value_kind:     hidden_group_size_y
      - .offset:         80
        .size:           2
        .value_kind:     hidden_group_size_z
      - .offset:         82
        .size:           2
        .value_kind:     hidden_remainder_x
      - .offset:         84
        .size:           2
        .value_kind:     hidden_remainder_y
      - .offset:         86
        .size:           2
        .value_kind:     hidden_remainder_z
      - .offset:         104
        .size:           8
        .value_kind:     hidden_global_offset_x
      - .offset:         112
        .size:           8
        .value_kind:     hidden_global_offset_y
      - .offset:         120
        .size:           8
        .value_kind:     hidden_global_offset_z
      - .offset:         128
        .size:           2
        .value_kind:     hidden_grid_dims
    .group_segment_fixed_size: 0
    .kernarg_segment_align: 8
    .kernarg_segment_size: 320
    .language:       OpenCL C
    .language_version:
      - 2
      - 0
    .max_flat_workgroup_size: 1024
    .name:           _ZN2at6native12_GLOBAL__N_149max_pool3d_with_indices_backward_single_out_frameIfEEvPT_PKS3_PKliiiiiiiiib
    .private_segment_fixed_size: 0
    .sgpr_count:     26
    .sgpr_spill_count: 0
    .symbol:         _ZN2at6native12_GLOBAL__N_149max_pool3d_with_indices_backward_single_out_frameIfEEvPT_PKS3_PKliiiiiiiiib.kd
    .uniform_work_group_size: 1
    .uses_dynamic_stack: false
    .vgpr_count:     16
    .vgpr_spill_count: 0
    .wavefront_size: 32
    .workgroup_processor_mode: 1
  - .args:
      - .address_space:  global
        .offset:         0
        .size:           8
        .value_kind:     global_buffer
      - .address_space:  global
        .offset:         8
        .size:           8
        .value_kind:     global_buffer
      - .address_space:  global
        .offset:         16
        .size:           8
        .value_kind:     global_buffer
      - .offset:         24
        .size:           4
        .value_kind:     by_value
      - .offset:         28
        .size:           4
        .value_kind:     by_value
      - .offset:         32
        .size:           4
        .value_kind:     by_value
      - .offset:         36
        .size:           4
        .value_kind:     by_value
      - .offset:         40
        .size:           4
        .value_kind:     by_value
      - .offset:         44
        .size:           4
        .value_kind:     by_value
      - .offset:         48
        .size:           4
        .value_kind:     by_value
      - .offset:         52
        .size:           4
        .value_kind:     by_value
      - .offset:         56
        .size:           4
        .value_kind:     by_value
      - .offset:         60
        .size:           1
        .value_kind:     by_value
      - .offset:         64
        .size:           4
        .value_kind:     hidden_block_count_x
      - .offset:         68
        .size:           4
        .value_kind:     hidden_block_count_y
      - .offset:         72
        .size:           4
        .value_kind:     hidden_block_count_z
      - .offset:         76
        .size:           2
        .value_kind:     hidden_group_size_x
      - .offset:         78
        .size:           2
        .value_kind:     hidden_group_size_y
      - .offset:         80
        .size:           2
        .value_kind:     hidden_group_size_z
      - .offset:         82
        .size:           2
        .value_kind:     hidden_remainder_x
      - .offset:         84
        .size:           2
        .value_kind:     hidden_remainder_y
      - .offset:         86
        .size:           2
        .value_kind:     hidden_remainder_z
      - .offset:         104
        .size:           8
        .value_kind:     hidden_global_offset_x
      - .offset:         112
        .size:           8
        .value_kind:     hidden_global_offset_y
      - .offset:         120
        .size:           8
        .value_kind:     hidden_global_offset_z
      - .offset:         128
        .size:           2
        .value_kind:     hidden_grid_dims
    .group_segment_fixed_size: 0
    .kernarg_segment_align: 8
    .kernarg_segment_size: 320
    .language:       OpenCL C
    .language_version:
      - 2
      - 0
    .max_flat_workgroup_size: 1024
    .name:           _ZN2at6native12_GLOBAL__N_149max_pool3d_with_indices_backward_single_out_frameIN3c104HalfEEEvPT_PKS5_PKliiiiiiiiib
    .private_segment_fixed_size: 0
    .sgpr_count:     26
    .sgpr_spill_count: 0
    .symbol:         _ZN2at6native12_GLOBAL__N_149max_pool3d_with_indices_backward_single_out_frameIN3c104HalfEEEvPT_PKS5_PKliiiiiiiiib.kd
    .uniform_work_group_size: 1
    .uses_dynamic_stack: false
    .vgpr_count:     16
    .vgpr_spill_count: 0
    .wavefront_size: 32
    .workgroup_processor_mode: 1
  - .args:
      - .address_space:  global
        .offset:         0
        .size:           8
        .value_kind:     global_buffer
      - .address_space:  global
        .offset:         8
        .size:           8
        .value_kind:     global_buffer
      - .address_space:  global
        .offset:         16
        .size:           8
        .value_kind:     global_buffer
      - .offset:         24
        .size:           4
        .value_kind:     by_value
      - .offset:         28
        .size:           4
        .value_kind:     by_value
      - .offset:         32
        .size:           4
        .value_kind:     by_value
      - .offset:         36
        .size:           4
        .value_kind:     by_value
      - .offset:         40
        .size:           4
        .value_kind:     by_value
      - .offset:         44
        .size:           4
        .value_kind:     by_value
      - .offset:         48
        .size:           4
        .value_kind:     by_value
      - .offset:         52
        .size:           4
        .value_kind:     by_value
      - .offset:         56
        .size:           4
        .value_kind:     by_value
      - .offset:         60
        .size:           1
        .value_kind:     by_value
      - .offset:         64
        .size:           4
        .value_kind:     hidden_block_count_x
      - .offset:         68
        .size:           4
        .value_kind:     hidden_block_count_y
      - .offset:         72
        .size:           4
        .value_kind:     hidden_block_count_z
      - .offset:         76
        .size:           2
        .value_kind:     hidden_group_size_x
      - .offset:         78
        .size:           2
        .value_kind:     hidden_group_size_y
      - .offset:         80
        .size:           2
        .value_kind:     hidden_group_size_z
      - .offset:         82
        .size:           2
        .value_kind:     hidden_remainder_x
      - .offset:         84
        .size:           2
        .value_kind:     hidden_remainder_y
      - .offset:         86
        .size:           2
        .value_kind:     hidden_remainder_z
      - .offset:         104
        .size:           8
        .value_kind:     hidden_global_offset_x
      - .offset:         112
        .size:           8
        .value_kind:     hidden_global_offset_y
      - .offset:         120
        .size:           8
        .value_kind:     hidden_global_offset_z
      - .offset:         128
        .size:           2
        .value_kind:     hidden_grid_dims
    .group_segment_fixed_size: 0
    .kernarg_segment_align: 8
    .kernarg_segment_size: 320
    .language:       OpenCL C
    .language_version:
      - 2
      - 0
    .max_flat_workgroup_size: 1024
    .name:           _ZN2at6native12_GLOBAL__N_149max_pool3d_with_indices_backward_single_out_frameIN3c108BFloat16EEEvPT_PKS5_PKliiiiiiiiib
    .private_segment_fixed_size: 0
    .sgpr_count:     26
    .sgpr_spill_count: 0
    .symbol:         _ZN2at6native12_GLOBAL__N_149max_pool3d_with_indices_backward_single_out_frameIN3c108BFloat16EEEvPT_PKS5_PKliiiiiiiiib.kd
    .uniform_work_group_size: 1
    .uses_dynamic_stack: false
    .vgpr_count:     16
    .vgpr_spill_count: 0
    .wavefront_size: 32
    .workgroup_processor_mode: 1
amdhsa.target:   amdgcn-amd-amdhsa--gfx1100
amdhsa.version:
  - 1
  - 2
...

	.end_amdgpu_metadata
